;; amdgpu-corpus repo=ROCm/rocFFT kind=compiled arch=gfx906 opt=O3
	.text
	.amdgcn_target "amdgcn-amd-amdhsa--gfx906"
	.amdhsa_code_object_version 6
	.protected	bluestein_single_fwd_len1188_dim1_dp_op_CI_CI ; -- Begin function bluestein_single_fwd_len1188_dim1_dp_op_CI_CI
	.globl	bluestein_single_fwd_len1188_dim1_dp_op_CI_CI
	.p2align	8
	.type	bluestein_single_fwd_len1188_dim1_dp_op_CI_CI,@function
bluestein_single_fwd_len1188_dim1_dp_op_CI_CI: ; @bluestein_single_fwd_len1188_dim1_dp_op_CI_CI
; %bb.0:
	v_mul_u32_u24_e32 v1, 0x3e1, v0
	s_mov_b64 s[50:51], s[2:3]
	s_load_dwordx4 s[16:19], s[4:5], 0x28
	v_lshrrev_b32_e32 v1, 16, v1
	s_mov_b64 s[48:49], s[0:1]
	v_mad_u64_u32 v[80:81], s[0:1], s6, 3, v[1:2]
	v_mov_b32_e32 v81, 0
	s_add_u32 s48, s48, s7
	s_waitcnt lgkmcnt(0)
	v_cmp_gt_u64_e32 vcc, s[16:17], v[80:81]
	s_addc_u32 s49, s49, 0
	s_and_saveexec_b64 s[0:1], vcc
	s_cbranch_execz .LBB0_10
; %bb.1:
	s_load_dwordx4 s[0:3], s[4:5], 0x18
	s_load_dwordx4 s[8:11], s[4:5], 0x0
	v_mul_lo_u16_e32 v1, 0x42, v1
	v_sub_u16_e32 v254, v0, v1
	v_lshlrev_b32_e32 v222, 4, v254
	s_waitcnt lgkmcnt(0)
	s_load_dwordx4 s[12:15], s[0:1], 0x0
	global_load_dwordx4 v[92:95], v222, s[8:9]
	v_mov_b32_e32 v50, 0xffffc640
	s_movk_i32 s16, 0x42
                                        ; implicit-def: $vgpr156_vgpr157
                                        ; implicit-def: $vgpr160_vgpr161
                                        ; implicit-def: $vgpr164_vgpr165
	s_waitcnt lgkmcnt(0)
	v_mad_u64_u32 v[0:1], s[0:1], s14, v80, 0
	v_mad_u64_u32 v[2:3], s[0:1], s12, v254, 0
	s_mul_hi_u32 s17, s12, 0xc60
	v_mad_u64_u32 v[4:5], s[0:1], s15, v80, v[1:2]
	s_load_dwordx2 s[14:15], s[4:5], 0x38
	s_mov_b32 s4, 0xaaaaaaab
	v_mad_u64_u32 v[5:6], s[0:1], s13, v254, v[3:4]
	v_mov_b32_e32 v1, v4
	v_lshlrev_b64 v[0:1], 4, v[0:1]
	v_mov_b32_e32 v3, v5
	v_mov_b32_e32 v6, s19
	v_lshlrev_b64 v[2:3], 4, v[2:3]
	v_add_co_u32_e32 v0, vcc, s18, v0
	v_addc_co_u32_e32 v1, vcc, v6, v1, vcc
	v_add_co_u32_e32 v8, vcc, v0, v2
	s_mul_i32 s0, s13, 0xc60
	v_addc_co_u32_e32 v9, vcc, v1, v3, vcc
	s_add_i32 s17, s17, s0
	s_mul_i32 s18, s12, 0xc60
	v_mov_b32_e32 v0, s17
	v_add_co_u32_e32 v10, vcc, s18, v8
	v_addc_co_u32_e32 v11, vcc, v9, v0, vcc
	global_load_dwordx4 v[0:3], v[8:9], off
	global_load_dwordx4 v[84:87], v222, s[8:9] offset:3168
	global_load_dwordx4 v[4:7], v[10:11], off
	v_mov_b32_e32 v8, s9
	v_add_co_u32_e32 v51, vcc, s8, v222
	s_movk_i32 s0, 0x1000
	s_movk_i32 s1, 0x2000
	;; [unrolled: 1-line block ×3, first 2 shown]
	v_addc_co_u32_e32 v54, vcc, 0, v8, vcc
	v_mul_hi_u32 v83, v80, s4
	s_load_dwordx4 s[4:7], s[2:3], 0x0
	v_add_co_u32_e32 v56, vcc, s0, v51
	v_add_co_u32_e64 v64, s[0:1], s1, v51
	v_add_co_u32_e64 v68, s[2:3], s19, v51
	v_addc_co_u32_e32 v57, vcc, 0, v54, vcc
	v_addc_co_u32_e64 v65, vcc, 0, v54, s[0:1]
	v_addc_co_u32_e64 v69, vcc, 0, v54, s[2:3]
	v_mov_b32_e32 v8, s17
	v_add_co_u32_e32 v12, vcc, s18, v10
	v_addc_co_u32_e32 v13, vcc, v11, v8, vcc
	v_mov_b32_e32 v14, s17
	v_add_co_u32_e32 v24, vcc, s18, v12
	v_addc_co_u32_e32 v25, vcc, v13, v14, vcc
	v_mov_b32_e32 v15, s17
	v_add_co_u32_e32 v26, vcc, s18, v24
	v_addc_co_u32_e32 v27, vcc, v25, v15, vcc
	v_mov_b32_e32 v16, s17
	v_add_co_u32_e32 v28, vcc, s18, v26
	s_mul_i32 s0, s13, 0xffffc640
	v_addc_co_u32_e32 v29, vcc, v27, v16, vcc
	s_sub_i32 s2, s0, s12
	v_mad_u64_u32 v[30:31], s[0:1], s12, v50, v[28:29]
	global_load_dwordx4 v[88:91], v222, s[8:9] offset:1056
	global_load_dwordx4 v[96:99], v222, s[8:9] offset:2112
	global_load_dwordx4 v[152:155], v[56:57], off offset:2240
	global_load_dwordx4 v[148:151], v[64:65], off offset:1312
	;; [unrolled: 1-line block ×4, first 2 shown]
	global_load_dwordx4 v[8:11], v[12:13], off
	s_nop 0
	global_load_dwordx4 v[12:15], v[24:25], off
	global_load_dwordx4 v[16:19], v[26:27], off
	;; [unrolled: 1-line block ×3, first 2 shown]
	v_add_u32_e32 v31, s2, v31
	v_mov_b32_e32 v28, s17
	v_add_co_u32_e32 v32, vcc, s18, v30
	v_addc_co_u32_e32 v33, vcc, v31, v28, vcc
	v_mov_b32_e32 v34, s17
	v_add_co_u32_e32 v36, vcc, s18, v32
	v_addc_co_u32_e32 v37, vcc, v33, v34, vcc
	;; [unrolled: 3-line block ×5, first 2 shown]
	v_mad_u64_u32 v[52:53], s[0:1], s12, v50, v[48:49]
	s_movk_i32 s3, 0x4000
	v_add_co_u32_e32 v81, vcc, s3, v51
	v_addc_co_u32_e32 v82, vcc, 0, v54, vcc
	v_add_u32_e32 v53, s2, v53
	v_mov_b32_e32 v54, s17
	v_add_co_u32_e32 v58, vcc, s18, v52
	v_addc_co_u32_e32 v59, vcc, v53, v54, vcc
	s_waitcnt vmcnt(12)
	v_mul_f64 v[72:73], v[2:3], v[94:95]
	global_load_dwordx4 v[24:27], v[30:31], off
	s_nop 0
	global_load_dwordx4 v[28:31], v[32:33], off
	global_load_dwordx4 v[128:131], v[56:57], off offset:128
	s_nop 0
	global_load_dwordx4 v[32:35], v[36:37], off
	global_load_dwordx4 v[124:127], v[56:57], off offset:3296
	;; [unrolled: 3-line block ×4, first 2 shown]
	global_load_dwordx4 v[100:103], v[81:82], off offset:512
	v_add_co_u32_e32 v60, vcc, s18, v58
	global_load_dwordx4 v[44:47], v[48:49], off
	s_waitcnt vmcnt(21)
	v_mul_f64 v[76:77], v[6:7], v[86:87]
	global_load_dwordx4 v[48:51], v[52:53], off
	s_nop 0
	global_load_dwordx4 v[52:55], v[58:59], off
	global_load_dwordx4 v[104:107], v[56:57], off offset:1184
	v_mov_b32_e32 v56, s17
	v_addc_co_u32_e32 v61, vcc, v59, v56, vcc
	v_mov_b32_e32 v62, s17
	v_add_co_u32_e32 v66, vcc, s18, v60
	v_addc_co_u32_e32 v67, vcc, v61, v62, vcc
	global_load_dwordx4 v[56:59], v[60:61], off
	global_load_dwordx4 v[120:123], v[64:65], off offset:256
	s_nop 0
	global_load_dwordx4 v[60:63], v[66:67], off
	global_load_dwordx4 v[132:135], v[64:65], off offset:3424
	v_mov_b32_e32 v64, s17
	v_add_co_u32_e32 v70, vcc, s18, v66
	v_addc_co_u32_e32 v71, vcc, v67, v64, vcc
	global_load_dwordx4 v[64:67], v[70:71], off
	global_load_dwordx4 v[136:139], v[68:69], off offset:2496
	v_mov_b32_e32 v69, s17
	v_add_co_u32_e32 v68, vcc, s18, v70
	v_addc_co_u32_e32 v69, vcc, v71, v69, vcc
	v_mul_f64 v[74:75], v[0:1], v[94:95]
	global_load_dwordx4 v[68:71], v[68:69], off
	s_nop 0
	global_load_dwordx4 v[144:147], v[81:82], off offset:1568
	v_fma_f64 v[0:1], v[0:1], v[92:93], v[72:73]
	buffer_store_dword v92, off, s[48:51], 0 offset:100 ; 4-byte Folded Spill
	s_nop 0
	buffer_store_dword v93, off, s[48:51], 0 offset:104 ; 4-byte Folded Spill
	buffer_store_dword v94, off, s[48:51], 0 offset:108 ; 4-byte Folded Spill
	;; [unrolled: 1-line block ×3, first 2 shown]
	v_mul_f64 v[78:79], v[4:5], v[86:87]
	v_fma_f64 v[4:5], v[4:5], v[84:85], v[76:77]
	buffer_store_dword v84, off, s[48:51], 0 offset:68 ; 4-byte Folded Spill
	s_nop 0
	buffer_store_dword v85, off, s[48:51], 0 offset:72 ; 4-byte Folded Spill
	buffer_store_dword v86, off, s[48:51], 0 offset:76 ; 4-byte Folded Spill
	;; [unrolled: 1-line block ×3, first 2 shown]
	s_waitcnt vmcnt(33)
	v_mul_f64 v[72:73], v[10:11], v[154:155]
	s_waitcnt vmcnt(32)
	v_mul_f64 v[76:77], v[14:15], v[150:151]
	v_lshrrev_b32_e32 v81, 1, v83
	v_lshl_add_u32 v81, v81, 1, v81
	v_sub_u32_e32 v81, v80, v81
	s_movk_i32 s0, 0x84
	v_add_co_u32_e32 v245, vcc, s0, v254
	s_mov_b32 s0, 0xe8584caa
	s_mov_b32 s1, 0x3febb67a
	;; [unrolled: 1-line block ×4, first 2 shown]
	v_add_co_u32_e32 v223, vcc, s16, v254
	v_fma_f64 v[2:3], v[2:3], v[92:93], -v[74:75]
	v_mul_f64 v[74:75], v[8:9], v[154:155]
	v_fma_f64 v[6:7], v[6:7], v[84:85], -v[78:79]
	v_mul_u32_u24_e32 v78, 0x4a4, v81
	v_lshlrev_b32_e32 v244, 4, v78
	v_add_u32_e32 v87, v222, v244
	buffer_store_dword v78, off, s[48:51], 0 offset:64 ; 4-byte Folded Spill
	ds_write_b128 v87, v[0:3]
	ds_write_b128 v87, v[4:7] offset:3168
	v_mul_f64 v[6:7], v[12:13], v[150:151]
	v_fma_f64 v[0:1], v[8:9], v[152:153], v[72:73]
	buffer_store_dword v152, off, s[48:51], 0 offset:340 ; 4-byte Folded Spill
	s_nop 0
	buffer_store_dword v153, off, s[48:51], 0 offset:344 ; 4-byte Folded Spill
	buffer_store_dword v154, off, s[48:51], 0 offset:348 ; 4-byte Folded Spill
	;; [unrolled: 1-line block ×3, first 2 shown]
	v_fma_f64 v[4:5], v[12:13], v[148:149], v[76:77]
	buffer_store_dword v148, off, s[48:51], 0 offset:324 ; 4-byte Folded Spill
	s_nop 0
	buffer_store_dword v149, off, s[48:51], 0 offset:328 ; 4-byte Folded Spill
	buffer_store_dword v150, off, s[48:51], 0 offset:332 ; 4-byte Folded Spill
	;; [unrolled: 1-line block ×3, first 2 shown]
	s_waitcnt vmcnt(40)
	v_mul_f64 v[8:9], v[18:19], v[142:143]
	s_waitcnt vmcnt(39)
	v_mul_f64 v[12:13], v[22:23], v[114:115]
	v_mul_f64 v[72:73], v[20:21], v[114:115]
	v_fma_f64 v[2:3], v[10:11], v[152:153], -v[74:75]
	v_mul_f64 v[10:11], v[16:17], v[142:143]
	v_fma_f64 v[6:7], v[14:15], v[148:149], -v[6:7]
	s_waitcnt vmcnt(38)
	v_mul_f64 v[14:15], v[26:27], v[90:91]
	v_mul_f64 v[74:75], v[24:25], v[90:91]
                                        ; implicit-def: $vgpr152_vgpr153
	ds_write_b128 v87, v[0:3] offset:6336
	v_fma_f64 v[0:1], v[16:17], v[140:141], v[8:9]
	buffer_store_dword v140, off, s[48:51], 0 offset:292 ; 4-byte Folded Spill
	s_nop 0
	buffer_store_dword v141, off, s[48:51], 0 offset:296 ; 4-byte Folded Spill
	buffer_store_dword v142, off, s[48:51], 0 offset:300 ; 4-byte Folded Spill
	;; [unrolled: 1-line block ×3, first 2 shown]
	v_fma_f64 v[8:9], v[20:21], v[112:113], v[12:13]
	buffer_store_dword v112, off, s[48:51], 0 offset:180 ; 4-byte Folded Spill
	s_nop 0
	buffer_store_dword v113, off, s[48:51], 0 offset:184 ; 4-byte Folded Spill
	buffer_store_dword v114, off, s[48:51], 0 offset:188 ; 4-byte Folded Spill
	buffer_store_dword v115, off, s[48:51], 0 offset:192 ; 4-byte Folded Spill
	ds_write_b128 v87, v[4:7] offset:9504
	v_fma_f64 v[4:5], v[24:25], v[88:89], v[14:15]
	buffer_store_dword v88, off, s[48:51], 0 offset:84 ; 4-byte Folded Spill
	s_nop 0
	buffer_store_dword v89, off, s[48:51], 0 offset:88 ; 4-byte Folded Spill
	buffer_store_dword v90, off, s[48:51], 0 offset:92 ; 4-byte Folded Spill
	;; [unrolled: 1-line block ×3, first 2 shown]
	s_waitcnt vmcnt(48)
	v_mul_f64 v[12:13], v[30:31], v[130:131]
	v_mul_f64 v[14:15], v[28:29], v[130:131]
	s_waitcnt vmcnt(46)
	v_mul_f64 v[16:17], v[34:35], v[126:127]
	s_waitcnt vmcnt(29)
	v_mul_f64 v[20:21], v[70:71], v[146:147]
	v_fma_f64 v[20:21], v[68:69], v[144:145], v[20:21]
	v_fma_f64 v[2:3], v[18:19], v[140:141], -v[10:11]
	v_mul_f64 v[18:19], v[44:45], v[102:103]
	v_fma_f64 v[10:11], v[22:23], v[112:113], -v[72:73]
	v_mul_f64 v[22:23], v[68:69], v[146:147]
	v_fma_f64 v[6:7], v[26:27], v[88:89], -v[74:75]
	ds_write_b128 v87, v[0:3] offset:12672
	v_fma_f64 v[0:1], v[28:29], v[128:129], v[12:13]
	ds_write_b128 v87, v[8:11] offset:15840
	v_mul_f64 v[8:9], v[38:39], v[118:119]
	v_mul_f64 v[12:13], v[42:43], v[110:111]
	ds_write_b128 v87, v[4:7] offset:1056
	buffer_store_dword v128, off, s[48:51], 0 offset:244 ; 4-byte Folded Spill
	s_nop 0
	buffer_store_dword v129, off, s[48:51], 0 offset:248 ; 4-byte Folded Spill
	buffer_store_dword v130, off, s[48:51], 0 offset:252 ; 4-byte Folded Spill
	;; [unrolled: 1-line block ×3, first 2 shown]
	v_mul_f64 v[6:7], v[32:33], v[126:127]
	v_fma_f64 v[4:5], v[32:33], v[124:125], v[16:17]
	buffer_store_dword v124, off, s[48:51], 0 offset:228 ; 4-byte Folded Spill
	s_nop 0
	buffer_store_dword v125, off, s[48:51], 0 offset:232 ; 4-byte Folded Spill
	buffer_store_dword v126, off, s[48:51], 0 offset:236 ; 4-byte Folded Spill
	;; [unrolled: 1-line block ×3, first 2 shown]
	v_mul_f64 v[16:17], v[46:47], v[102:103]
	v_mul_f64 v[10:11], v[36:37], v[118:119]
	v_fma_f64 v[2:3], v[30:31], v[128:129], -v[14:15]
	v_mul_f64 v[14:15], v[40:41], v[110:111]
	v_fma_f64 v[6:7], v[34:35], v[124:125], -v[6:7]
	ds_write_b128 v87, v[0:3] offset:4224
	v_fma_f64 v[0:1], v[36:37], v[116:117], v[8:9]
	buffer_store_dword v116, off, s[48:51], 0 offset:196 ; 4-byte Folded Spill
	s_nop 0
	buffer_store_dword v117, off, s[48:51], 0 offset:200 ; 4-byte Folded Spill
	buffer_store_dword v118, off, s[48:51], 0 offset:204 ; 4-byte Folded Spill
	buffer_store_dword v119, off, s[48:51], 0 offset:208 ; 4-byte Folded Spill
	v_fma_f64 v[8:9], v[40:41], v[108:109], v[12:13]
	buffer_store_dword v108, off, s[48:51], 0 offset:164 ; 4-byte Folded Spill
	s_nop 0
	buffer_store_dword v109, off, s[48:51], 0 offset:168 ; 4-byte Folded Spill
	buffer_store_dword v110, off, s[48:51], 0 offset:172 ; 4-byte Folded Spill
	buffer_store_dword v111, off, s[48:51], 0 offset:176 ; 4-byte Folded Spill
	;; [unrolled: 6-line block ×3, first 2 shown]
	ds_write_b128 v87, v[4:7] offset:7392
	v_mul_f64 v[4:5], v[50:51], v[98:99]
	v_mul_f64 v[16:17], v[54:55], v[106:107]
	;; [unrolled: 1-line block ×3, first 2 shown]
	v_fma_f64 v[2:3], v[38:39], v[116:117], -v[10:11]
	v_fma_f64 v[10:11], v[42:43], v[108:109], -v[14:15]
	;; [unrolled: 1-line block ×3, first 2 shown]
	v_mul_f64 v[18:19], v[52:53], v[106:107]
	ds_write_b128 v87, v[0:3] offset:10560
	ds_write_b128 v87, v[8:11] offset:13728
	;; [unrolled: 1-line block ×3, first 2 shown]
	v_fma_f64 v[0:1], v[48:49], v[96:97], v[4:5]
	buffer_store_dword v96, off, s[48:51], 0 offset:116 ; 4-byte Folded Spill
	s_nop 0
	buffer_store_dword v97, off, s[48:51], 0 offset:120 ; 4-byte Folded Spill
	buffer_store_dword v98, off, s[48:51], 0 offset:124 ; 4-byte Folded Spill
	;; [unrolled: 1-line block ×3, first 2 shown]
	v_fma_f64 v[4:5], v[52:53], v[104:105], v[16:17]
	buffer_store_dword v104, off, s[48:51], 0 offset:148 ; 4-byte Folded Spill
	s_nop 0
	buffer_store_dword v105, off, s[48:51], 0 offset:152 ; 4-byte Folded Spill
	buffer_store_dword v106, off, s[48:51], 0 offset:156 ; 4-byte Folded Spill
	;; [unrolled: 1-line block ×3, first 2 shown]
	v_mul_f64 v[8:9], v[58:59], v[122:123]
	v_mul_f64 v[12:13], v[62:63], v[134:135]
	;; [unrolled: 1-line block ×5, first 2 shown]
	v_fma_f64 v[8:9], v[56:57], v[120:121], v[8:9]
	buffer_store_dword v120, off, s[48:51], 0 offset:212 ; 4-byte Folded Spill
	s_nop 0
	buffer_store_dword v121, off, s[48:51], 0 offset:216 ; 4-byte Folded Spill
	buffer_store_dword v122, off, s[48:51], 0 offset:220 ; 4-byte Folded Spill
	buffer_store_dword v123, off, s[48:51], 0 offset:224 ; 4-byte Folded Spill
	v_fma_f64 v[12:13], v[60:61], v[132:133], v[12:13]
	buffer_store_dword v132, off, s[48:51], 0 offset:260 ; 4-byte Folded Spill
	s_nop 0
	buffer_store_dword v133, off, s[48:51], 0 offset:264 ; 4-byte Folded Spill
	buffer_store_dword v134, off, s[48:51], 0 offset:268 ; 4-byte Folded Spill
	;; [unrolled: 1-line block ×3, first 2 shown]
	v_fma_f64 v[16:17], v[64:65], v[136:137], v[16:17]
	v_fma_f64 v[2:3], v[50:51], v[96:97], -v[6:7]
	v_fma_f64 v[6:7], v[54:55], v[104:105], -v[18:19]
	v_mul_f64 v[18:19], v[64:65], v[138:139]
	buffer_store_dword v136, off, s[48:51], 0 offset:276 ; 4-byte Folded Spill
	s_nop 0
	buffer_store_dword v137, off, s[48:51], 0 offset:280 ; 4-byte Folded Spill
	buffer_store_dword v138, off, s[48:51], 0 offset:284 ; 4-byte Folded Spill
	;; [unrolled: 1-line block ×4, first 2 shown]
	s_nop 0
	buffer_store_dword v145, off, s[48:51], 0 offset:312 ; 4-byte Folded Spill
	buffer_store_dword v146, off, s[48:51], 0 offset:316 ; 4-byte Folded Spill
	;; [unrolled: 1-line block ×3, first 2 shown]
	v_fma_f64 v[10:11], v[58:59], v[120:121], -v[10:11]
	v_fma_f64 v[14:15], v[62:63], v[132:133], -v[14:15]
	;; [unrolled: 1-line block ×4, first 2 shown]
	ds_write_b128 v87, v[0:3] offset:2112
	ds_write_b128 v87, v[4:7] offset:5280
	;; [unrolled: 1-line block ×6, first 2 shown]
	s_waitcnt vmcnt(0) lgkmcnt(0)
	s_barrier
	ds_read_b128 v[0:3], v87 offset:15840
	ds_read_b128 v[4:7], v87
	ds_read_b128 v[8:11], v87 offset:1056
	ds_read_b128 v[12:15], v87 offset:6336
	;; [unrolled: 1-line block ×10, first 2 shown]
	s_waitcnt lgkmcnt(6)
	v_add_f64 v[66:67], v[12:13], v[20:21]
	v_add_f64 v[64:65], v[4:5], v[12:13]
	;; [unrolled: 1-line block ×3, first 2 shown]
	v_add_f64 v[12:13], v[12:13], -v[20:21]
	s_waitcnt lgkmcnt(0)
	v_add_f64 v[68:69], v[44:45], v[0:1]
	v_add_f64 v[70:71], v[46:47], v[2:3]
	v_add_f64 v[74:75], v[46:47], -v[2:3]
	v_add_f64 v[72:73], v[44:45], -v[0:1]
	v_fma_f64 v[4:5], v[66:67], -0.5, v[4:5]
	v_add_f64 v[66:67], v[14:15], -v[22:23]
	v_add_f64 v[14:15], v[6:7], v[14:15]
	v_fma_f64 v[6:7], v[76:77], -0.5, v[6:7]
	v_fma_f64 v[68:69], v[68:69], -0.5, v[28:29]
	;; [unrolled: 1-line block ×3, first 2 shown]
	v_add_f64 v[64:65], v[64:65], v[20:21]
	ds_read_b128 v[48:51], v87 offset:8448
	ds_read_b128 v[52:55], v87 offset:14784
	;; [unrolled: 1-line block ×4, first 2 shown]
	v_fma_f64 v[78:79], v[66:67], s[0:1], v[4:5]
	v_fma_f64 v[66:67], v[66:67], s[2:3], v[4:5]
	;; [unrolled: 1-line block ×7, first 2 shown]
	v_add_f64 v[74:75], v[14:15], v[22:23]
	v_add_f64 v[14:15], v[28:29], v[44:45]
	;; [unrolled: 1-line block ×3, first 2 shown]
	v_fma_f64 v[46:47], v[12:13], s[2:3], v[6:7]
	v_mul_f64 v[22:23], v[81:82], -0.5
	v_mul_f64 v[30:31], v[68:69], s[2:3]
	v_mul_f64 v[20:21], v[4:5], s[0:1]
	v_mul_f64 v[44:45], v[70:71], -0.5
	v_add_f64 v[72:73], v[14:15], v[0:1]
	v_add_f64 v[83:84], v[28:29], v[2:3]
	v_fma_f64 v[70:71], v[70:71], s[0:1], v[22:23]
	v_fma_f64 v[85:86], v[4:5], 0.5, v[30:31]
	ds_read_b128 v[0:3], v87 offset:16896
	ds_read_b128 v[4:7], v87 offset:17952
	v_fma_f64 v[68:69], v[68:69], 0.5, v[20:21]
	v_fma_f64 v[44:45], v[81:82], s[2:3], v[44:45]
	v_add_f64 v[81:82], v[16:17], v[24:25]
	s_waitcnt lgkmcnt(1)
	v_add_f64 v[88:89], v[56:57], v[0:1]
	v_add_f64 v[90:91], v[58:59], v[2:3]
	;; [unrolled: 1-line block ×6, first 2 shown]
	v_add_f64 v[64:65], v[64:65], -v[72:73]
	v_add_f64 v[68:69], v[78:79], -v[68:69]
	;; [unrolled: 1-line block ×3, first 2 shown]
	v_add_f64 v[78:79], v[8:9], v[16:17]
	v_fma_f64 v[8:9], v[81:82], -0.5, v[8:9]
	v_add_f64 v[81:82], v[18:19], -v[26:27]
	v_fma_f64 v[88:89], v[88:89], -0.5, v[36:37]
	v_fma_f64 v[90:91], v[90:91], -0.5, v[38:39]
	v_add_f64 v[92:93], v[56:57], -v[0:1]
	v_add_f64 v[94:95], v[58:59], -v[2:3]
	;; [unrolled: 1-line block ×3, first 2 shown]
	v_add_f64 v[46:47], v[18:19], v[26:27]
	v_add_f64 v[14:15], v[74:75], v[83:84]
	v_add_f64 v[66:67], v[74:75], -v[83:84]
	v_fma_f64 v[83:84], v[81:82], s[0:1], v[8:9]
	v_fma_f64 v[81:82], v[81:82], s[2:3], v[8:9]
	;; [unrolled: 1-line block ×4, first 2 shown]
	v_add_f64 v[18:19], v[10:11], v[18:19]
	v_fma_f64 v[85:86], v[94:95], s[0:1], v[88:89]
	v_fma_f64 v[10:11], v[46:47], -0.5, v[10:11]
	v_fma_f64 v[46:47], v[92:93], s[0:1], v[90:91]
	v_add_f64 v[78:79], v[78:79], v[24:25]
	v_add_f64 v[16:17], v[16:17], -v[24:25]
	v_add_f64 v[24:25], v[36:37], v[56:57]
	v_mul_f64 v[36:37], v[8:9], s[0:1]
	v_mul_f64 v[56:57], v[74:75], -0.5
	v_add_f64 v[38:39], v[38:39], v[58:59]
	v_mul_f64 v[58:59], v[85:86], s[2:3]
	v_add_f64 v[26:27], v[18:19], v[26:27]
	v_mul_f64 v[18:19], v[46:47], -0.5
	v_add_f64 v[30:31], v[76:77], v[44:45]
	v_add_f64 v[24:25], v[24:25], v[0:1]
	v_fma_f64 v[36:37], v[85:86], 0.5, v[36:37]
	v_fma_f64 v[46:47], v[46:47], s[0:1], v[56:57]
	s_waitcnt lgkmcnt(0)
	v_add_f64 v[94:95], v[62:63], v[6:7]
	v_fma_f64 v[85:86], v[8:9], 0.5, v[58:59]
	v_add_f64 v[58:59], v[60:61], v[4:5]
	v_fma_f64 v[92:93], v[74:75], s[2:3], v[18:19]
	v_add_f64 v[74:75], v[76:77], -v[44:45]
	v_add_f64 v[44:45], v[48:49], v[52:53]
	v_add_f64 v[38:39], v[38:39], v[2:3]
	v_fma_f64 v[88:89], v[16:17], s[2:3], v[10:11]
	v_fma_f64 v[90:91], v[16:17], s[0:1], v[10:11]
	v_add_f64 v[0:1], v[78:79], v[24:25]
	v_add_f64 v[8:9], v[83:84], v[36:37]
	;; [unrolled: 1-line block ×3, first 2 shown]
	v_add_f64 v[56:57], v[78:79], -v[24:25]
	v_add_f64 v[76:77], v[83:84], -v[36:37]
	;; [unrolled: 1-line block ×3, first 2 shown]
	v_add_f64 v[36:37], v[32:33], v[48:49]
	v_fma_f64 v[32:33], v[44:45], -0.5, v[32:33]
	v_add_f64 v[44:45], v[50:51], -v[54:55]
	v_fma_f64 v[46:47], v[58:59], -0.5, v[40:41]
	v_fma_f64 v[78:79], v[94:95], -0.5, v[42:43]
	v_add_f64 v[81:82], v[60:61], -v[4:5]
	v_add_f64 v[83:84], v[62:63], -v[6:7]
	v_add_f64 v[2:3], v[26:27], v[38:39]
	v_add_f64 v[58:59], v[26:27], -v[38:39]
	v_add_f64 v[26:27], v[34:35], v[50:51]
	v_add_f64 v[94:95], v[50:51], v[54:55]
	v_fma_f64 v[98:99], v[44:45], s[0:1], v[32:33]
	v_fma_f64 v[50:51], v[44:45], s[2:3], v[32:33]
	;; [unrolled: 1-line block ×4, first 2 shown]
	v_add_f64 v[96:97], v[36:37], v[52:53]
	v_fma_f64 v[36:37], v[83:84], s[2:3], v[46:47]
	v_fma_f64 v[44:45], v[81:82], s[0:1], v[78:79]
	v_add_f64 v[54:55], v[26:27], v[54:55]
	v_add_f64 v[26:27], v[40:41], v[60:61]
	;; [unrolled: 1-line block ×3, first 2 shown]
	v_fma_f64 v[34:35], v[94:95], -0.5, v[34:35]
	v_add_f64 v[46:47], v[48:49], -v[52:53]
	v_mul_f64 v[40:41], v[32:33], s[0:1]
	v_mul_f64 v[52:53], v[38:39], s[2:3]
	v_mul_f64 v[48:49], v[36:37], -0.5
	v_mul_f64 v[60:61], v[44:45], -0.5
	v_add_f64 v[4:5], v[26:27], v[4:5]
	v_add_f64 v[6:7], v[42:43], v[6:7]
	;; [unrolled: 1-line block ×3, first 2 shown]
	v_fma_f64 v[62:63], v[46:47], s[2:3], v[34:35]
	v_fma_f64 v[81:82], v[46:47], s[0:1], v[34:35]
	v_fma_f64 v[46:47], v[38:39], 0.5, v[40:41]
	v_fma_f64 v[94:95], v[32:33], 0.5, v[52:53]
	v_fma_f64 v[83:84], v[44:45], s[0:1], v[48:49]
	v_fma_f64 v[60:61], v[36:37], s[2:3], v[60:61]
	v_add_f64 v[18:19], v[90:91], v[92:93]
	v_add_f64 v[26:27], v[90:91], -v[92:93]
	v_add_f64 v[32:33], v[96:97], v[4:5]
	v_add_f64 v[34:35], v[54:55], v[6:7]
	;; [unrolled: 1-line block ×4, first 2 shown]
	v_add_f64 v[78:79], v[88:89], -v[85:86]
	v_add_f64 v[40:41], v[50:51], v[83:84]
	v_add_f64 v[42:43], v[81:82], v[60:61]
	v_add_f64 v[44:45], v[96:97], -v[4:5]
	v_mul_lo_u16_e32 v4, 6, v254
	v_add_f64 v[48:49], v[98:99], -v[46:47]
	v_add_f64 v[46:47], v[54:55], -v[6:7]
	v_lshl_add_u32 v4, v4, 4, v244
	v_add_f64 v[52:53], v[50:51], -v[83:84]
	v_add_f64 v[50:51], v[62:63], -v[94:95]
	s_barrier
	ds_write_b128 v4, v[12:15]
	ds_write_b128 v4, v[20:23] offset:16
	ds_write_b128 v4, v[28:31] offset:32
	;; [unrolled: 1-line block ×4, first 2 shown]
	buffer_store_dword v4, off, s[48:51], 0 offset:396 ; 4-byte Folded Spill
	ds_write_b128 v4, v[72:75] offset:80
	v_mul_u32_u24_e32 v4, 6, v223
	v_add_f64 v[54:55], v[81:82], -v[60:61]
	v_lshl_add_u32 v4, v4, 4, v244
	ds_write_b128 v4, v[0:3]
	ds_write_b128 v4, v[8:11] offset:16
	ds_write_b128 v4, v[16:19] offset:32
	ds_write_b128 v4, v[56:59] offset:48
	ds_write_b128 v4, v[76:79] offset:64
	v_mul_u32_u24_e32 v0, 6, v245
	v_lshl_add_u32 v255, v0, 4, v244
	buffer_store_dword v4, off, s[48:51], 0 offset:404 ; 4-byte Folded Spill
	ds_write_b128 v4, v[24:27] offset:80
	ds_write_b128 v255, v[32:35]
	ds_write_b128 v255, v[36:39] offset:16
	ds_write_b128 v255, v[40:43] offset:32
	;; [unrolled: 1-line block ×5, first 2 shown]
	s_waitcnt vmcnt(0) lgkmcnt(0)
	s_barrier
	ds_read_b128 v[28:31], v87
	ds_read_b128 v[148:151], v87 offset:1728
	ds_read_b128 v[144:147], v87 offset:3456
	ds_read_b128 v[140:143], v87 offset:5184
	ds_read_b128 v[136:139], v87 offset:6912
	ds_read_b128 v[132:135], v87 offset:8640
	ds_read_b128 v[128:131], v87 offset:10368
	ds_read_b128 v[124:127], v87 offset:12096
	ds_read_b128 v[120:123], v87 offset:13824
	ds_read_b128 v[116:119], v87 offset:15552
	ds_read_b128 v[100:103], v87 offset:17280
	v_cmp_gt_u16_e64 s[0:1], 42, v254
	s_and_saveexec_b64 s[2:3], s[0:1]
	s_cbranch_execz .LBB0_3
; %bb.2:
	ds_read_b128 v[24:27], v87 offset:1056
	ds_read_b128 v[32:35], v87 offset:2784
	;; [unrolled: 1-line block ×11, first 2 shown]
.LBB0_3:
	s_or_b64 exec, exec, s[2:3]
	s_movk_i32 s2, 0xab
	v_mul_lo_u16_sdwa v0, v254, s2 dst_sel:DWORD dst_unused:UNUSED_PAD src0_sel:BYTE_0 src1_sel:DWORD
	v_lshrrev_b16_e32 v243, 10, v0
	v_mul_lo_u16_e32 v0, 6, v243
	v_sub_u16_e32 v226, v254, v0
	v_mov_b32_e32 v56, 10
	v_mul_u32_u24_sdwa v0, v226, v56 dst_sel:DWORD dst_unused:UNUSED_PAD src0_sel:BYTE_0 src1_sel:DWORD
	v_lshlrev_b32_e32 v20, 4, v0
	global_load_dwordx4 v[194:197], v20, s[10:11]
	global_load_dwordx4 v[231:234], v20, s[10:11] offset:16
	global_load_dwordx4 v[227:230], v20, s[10:11] offset:32
	;; [unrolled: 1-line block ×7, first 2 shown]
	v_mul_lo_u16_sdwa v12, v223, s2 dst_sel:DWORD dst_unused:UNUSED_PAD src0_sel:BYTE_0 src1_sel:DWORD
	v_lshrrev_b16_e32 v0, 10, v12
	v_mul_lo_u16_e32 v57, 6, v0
	buffer_store_dword v0, off, s[48:51], 0 offset:356 ; 4-byte Folded Spill
	v_sub_u16_e32 v0, v223, v57
	v_mul_u32_u24_sdwa v56, v0, v56 dst_sel:DWORD dst_unused:UNUSED_PAD src0_sel:BYTE_0 src1_sel:DWORD
	global_load_dwordx4 v[12:15], v20, s[10:11] offset:144
	s_nop 0
	global_load_dwordx4 v[20:23], v20, s[10:11] offset:128
	v_lshlrev_b32_e32 v56, 4, v56
	buffer_store_dword v0, off, s[48:51], 0 offset:360 ; 4-byte Folded Spill
	global_load_dwordx4 v[246:249], v56, s[10:11]
	global_load_dwordx4 v[250:253], v56, s[10:11] offset:16
	global_load_dwordx4 v[4:7], v56, s[10:11] offset:32
	;; [unrolled: 1-line block ×9, first 2 shown]
	s_mov_b32 s22, 0xf8bb580b
	s_mov_b32 s23, 0xbfe14ced
	;; [unrolled: 1-line block ×28, first 2 shown]
	s_waitcnt vmcnt(21) lgkmcnt(9)
	v_mul_f64 v[56:57], v[150:151], v[196:197]
	v_mul_f64 v[58:59], v[148:149], v[196:197]
	s_waitcnt vmcnt(20) lgkmcnt(8)
	v_mul_f64 v[60:61], v[146:147], v[233:234]
	s_waitcnt vmcnt(19) lgkmcnt(7)
	;; [unrolled: 2-line block ×6, first 2 shown]
	v_mul_f64 v[90:91], v[122:123], v[85:86]
	v_fma_f64 v[148:149], v[148:149], v[194:195], -v[56:57]
	buffer_store_dword v194, off, s[48:51], 0 offset:456 ; 4-byte Folded Spill
	s_nop 0
	buffer_store_dword v195, off, s[48:51], 0 offset:460 ; 4-byte Folded Spill
	buffer_store_dword v196, off, s[48:51], 0 offset:464 ; 4-byte Folded Spill
	;; [unrolled: 1-line block ×3, first 2 shown]
	s_waitcnt vmcnt(13)
	v_mul_f64 v[106:107], v[34:35], v[248:249]
	s_waitcnt vmcnt(12)
	v_mul_f64 v[110:111], v[38:39], v[252:253]
	v_mul_f64 v[62:63], v[144:145], v[233:234]
	v_fma_f64 v[144:145], v[144:145], v[231:232], -v[60:61]
	buffer_store_dword v231, off, s[48:51], 0 offset:440 ; 4-byte Folded Spill
	s_nop 0
	buffer_store_dword v232, off, s[48:51], 0 offset:444 ; 4-byte Folded Spill
	buffer_store_dword v233, off, s[48:51], 0 offset:448 ; 4-byte Folded Spill
	;; [unrolled: 1-line block ×3, first 2 shown]
	v_mul_f64 v[66:67], v[140:141], v[229:230]
	v_mul_f64 v[70:71], v[136:137], v[220:221]
	;; [unrolled: 1-line block ×7, first 2 shown]
	v_fma_f64 v[140:141], v[140:141], v[227:228], -v[64:65]
	buffer_store_dword v227, off, s[48:51], 0 offset:424 ; 4-byte Folded Spill
	s_nop 0
	buffer_store_dword v228, off, s[48:51], 0 offset:428 ; 4-byte Folded Spill
	buffer_store_dword v229, off, s[48:51], 0 offset:432 ; 4-byte Folded Spill
	buffer_store_dword v230, off, s[48:51], 0 offset:436 ; 4-byte Folded Spill
	v_fma_f64 v[136:137], v[136:137], v[218:219], -v[68:69]
	buffer_store_dword v218, off, s[48:51], 0 offset:408 ; 4-byte Folded Spill
	s_nop 0
	buffer_store_dword v219, off, s[48:51], 0 offset:412 ; 4-byte Folded Spill
	buffer_store_dword v220, off, s[48:51], 0 offset:416 ; 4-byte Folded Spill
	buffer_store_dword v221, off, s[48:51], 0 offset:420 ; 4-byte Folded Spill
	;; [unrolled: 6-line block ×7, first 2 shown]
	v_add_f64 v[56:57], v[28:29], v[148:149]
	s_waitcnt vmcnt(43)
	v_mul_f64 v[114:115], v[42:43], v[6:7]
	s_waitcnt vmcnt(42)
	v_mul_f64 v[170:171], v[46:47], v[10:11]
	;; [unrolled: 2-line block ×5, first 2 shown]
	v_mul_f64 v[168:169], v[40:41], v[6:7]
	v_mul_f64 v[172:173], v[44:45], v[10:11]
	v_add_f64 v[56:57], v[56:57], v[144:145]
	v_mul_f64 v[176:177], v[48:49], v[216:217]
	v_mul_f64 v[180:181], v[52:53], v[212:213]
	;; [unrolled: 1-line block ×3, first 2 shown]
	v_fma_f64 v[64:65], v[40:41], v[4:5], -v[114:115]
	buffer_store_dword v4, off, s[48:51], 0 offset:536 ; 4-byte Folded Spill
	s_nop 0
	buffer_store_dword v5, off, s[48:51], 0 offset:540 ; 4-byte Folded Spill
	buffer_store_dword v6, off, s[48:51], 0 offset:544 ; 4-byte Folded Spill
	;; [unrolled: 1-line block ×3, first 2 shown]
	v_fma_f64 v[60:61], v[44:45], v[8:9], -v[170:171]
	buffer_store_dword v8, off, s[48:51], 0 offset:552 ; 4-byte Folded Spill
	s_nop 0
	buffer_store_dword v9, off, s[48:51], 0 offset:556 ; 4-byte Folded Spill
	buffer_store_dword v10, off, s[48:51], 0 offset:560 ; 4-byte Folded Spill
	buffer_store_dword v11, off, s[48:51], 0 offset:564 ; 4-byte Folded Spill
	v_add_f64 v[32:33], v[56:57], v[140:141]
	v_fma_f64 v[56:57], v[48:49], v[214:215], -v[174:175]
	buffer_store_dword v214, off, s[48:51], 0 offset:632 ; 4-byte Folded Spill
	s_nop 0
	buffer_store_dword v215, off, s[48:51], 0 offset:636 ; 4-byte Folded Spill
	buffer_store_dword v216, off, s[48:51], 0 offset:640 ; 4-byte Folded Spill
	buffer_store_dword v217, off, s[48:51], 0 offset:644 ; 4-byte Folded Spill
	v_fma_f64 v[52:53], v[52:53], v[210:211], -v[178:179]
	buffer_store_dword v210, off, s[48:51], 0 offset:616 ; 4-byte Folded Spill
	s_nop 0
	buffer_store_dword v211, off, s[48:51], 0 offset:620 ; 4-byte Folded Spill
	buffer_store_dword v212, off, s[48:51], 0 offset:624 ; 4-byte Folded Spill
	buffer_store_dword v213, off, s[48:51], 0 offset:628 ; 4-byte Folded Spill
	;; [unrolled: 6-line block ×3, first 2 shown]
	s_waitcnt vmcnt(58)
	v_mul_f64 v[186:187], v[158:159], v[200:201]
	v_mul_f64 v[188:189], v[156:157], v[200:201]
	s_waitcnt vmcnt(57) lgkmcnt(1)
	v_mul_f64 v[190:191], v[162:163], v[208:209]
	v_mul_f64 v[192:193], v[160:161], v[208:209]
	s_waitcnt vmcnt(56) lgkmcnt(0)
	v_mul_f64 v[196:197], v[164:165], v[2:3]
	v_add_f64 v[32:33], v[32:33], v[136:137]
	v_mul_f64 v[81:82], v[126:127], v[18:19]
	v_mul_f64 v[88:89], v[124:125], v[18:19]
	v_fma_f64 v[44:45], v[156:157], v[198:199], -v[186:187]
	buffer_store_dword v198, off, s[48:51], 0 offset:568 ; 4-byte Folded Spill
	s_nop 0
	buffer_store_dword v199, off, s[48:51], 0 offset:572 ; 4-byte Folded Spill
	buffer_store_dword v200, off, s[48:51], 0 offset:576 ; 4-byte Folded Spill
	buffer_store_dword v201, off, s[48:51], 0 offset:580 ; 4-byte Folded Spill
	v_mul_f64 v[98:99], v[102:103], v[14:15]
	v_mul_f64 v[104:105], v[100:101], v[14:15]
	v_mul_f64 v[94:95], v[118:119], v[22:23]
	v_add_f64 v[32:33], v[32:33], v[132:133]
	v_mul_f64 v[96:97], v[116:117], v[22:23]
	v_fma_f64 v[81:82], v[124:125], v[16:17], -v[81:82]
	v_fma_f64 v[88:89], v[126:127], v[16:17], v[88:89]
	v_add_f64 v[174:175], v[64:65], -v[44:45]
	v_fma_f64 v[98:99], v[100:101], v[12:13], -v[98:99]
	v_fma_f64 v[100:101], v[102:103], v[12:13], v[104:105]
	v_fma_f64 v[94:95], v[116:117], v[20:21], -v[94:95]
	v_add_f64 v[32:33], v[32:33], v[76:77]
	v_fma_f64 v[96:97], v[118:119], v[20:21], v[96:97]
	v_add_f64 v[170:171], v[60:61], v[48:49]
	v_add_f64 v[178:179], v[56:57], v[52:53]
	v_mul_f64 v[216:217], v[174:175], s[22:23]
	v_add_f64 v[104:105], v[148:149], -v[98:99]
	v_fma_f64 v[150:151], v[150:151], v[194:195], v[58:59]
	v_mul_f64 v[194:195], v[166:167], v[2:3]
	v_add_f64 v[32:33], v[32:33], v[81:82]
	v_add_f64 v[106:107], v[148:149], v[98:99]
	v_add_f64 v[156:157], v[144:145], -v[94:95]
	v_fma_f64 v[146:147], v[146:147], v[231:232], v[62:63]
	v_mul_f64 v[116:117], v[104:105], s[24:25]
	v_add_f64 v[58:59], v[30:31], v[150:151]
	v_fma_f64 v[36:37], v[164:165], v[0:1], -v[194:195]
	v_add_f64 v[102:103], v[150:151], -v[100:101]
	v_add_f64 v[32:33], v[32:33], v[90:91]
	v_mul_f64 v[120:121], v[104:105], s[12:13]
	v_mul_f64 v[124:125], v[104:105], s[20:21]
	v_fma_f64 v[142:143], v[142:143], v[227:228], v[66:67]
	v_mul_f64 v[164:165], v[156:157], s[20:21]
	v_fma_f64 v[138:139], v[138:139], v[218:219], v[70:71]
	v_add_f64 v[58:59], v[58:59], v[146:147]
	v_fma_f64 v[134:135], v[134:135], v[239:240], v[74:75]
	v_mul_f64 v[110:111], v[102:103], s[22:23]
	v_fma_f64 v[78:79], v[130:131], v[235:236], v[78:79]
	v_mul_f64 v[114:115], v[102:103], s[24:25]
	v_fma_f64 v[92:93], v[122:123], v[83:84], v[92:93]
	v_mul_f64 v[118:119], v[102:103], s[12:13]
	v_fma_f64 v[74:75], v[34:35], v[246:247], v[108:109]
	v_add_f64 v[34:35], v[58:59], v[142:143]
	v_fma_f64 v[70:71], v[38:39], v[250:251], v[112:113]
	v_fma_f64 v[38:39], v[160:161], v[206:207], -v[190:191]
	buffer_store_dword v206, off, s[48:51], 0 offset:600 ; 4-byte Folded Spill
	s_nop 0
	buffer_store_dword v207, off, s[48:51], 0 offset:604 ; 4-byte Folded Spill
	buffer_store_dword v208, off, s[48:51], 0 offset:608 ; 4-byte Folded Spill
	;; [unrolled: 1-line block ×4, first 2 shown]
	s_nop 0
	buffer_store_dword v1, off, s[48:51], 0 offset:524 ; 4-byte Folded Spill
	buffer_store_dword v2, off, s[48:51], 0 offset:528 ; 4-byte Folded Spill
	buffer_store_dword v3, off, s[48:51], 0 offset:532 ; 4-byte Folded Spill
	v_add_f64 v[108:109], v[150:151], v[100:101]
	v_mul_f64 v[112:113], v[104:105], s[22:23]
	v_mul_f64 v[122:123], v[102:103], s[20:21]
	v_add_f64 v[34:35], v[34:35], v[138:139]
	v_fma_f64 v[126:127], v[106:107], s[18:19], -v[110:111]
	v_add_f64 v[32:33], v[32:33], v[94:95]
	v_mul_f64 v[102:103], v[102:103], s[34:35]
	v_mul_f64 v[104:105], v[104:105], s[34:35]
	v_add_f64 v[94:95], v[144:145], v[94:95]
	v_fma_f64 v[128:129], v[108:109], s[18:19], v[112:113]
	v_fma_f64 v[110:111], v[106:107], s[18:19], v[110:111]
	v_add_f64 v[34:35], v[34:35], v[134:135]
	v_fma_f64 v[62:63], v[46:47], v[8:9], v[172:173]
	v_fma_f64 v[112:113], v[108:109], s[18:19], -v[112:113]
	v_fma_f64 v[130:131], v[106:107], s[2:3], -v[114:115]
	v_fma_f64 v[58:59], v[50:51], v[214:215], v[176:177]
	v_fma_f64 v[148:149], v[108:109], s[2:3], v[116:117]
	v_fma_f64 v[114:115], v[106:107], s[2:3], v[114:115]
	v_fma_f64 v[116:117], v[108:109], s[2:3], -v[116:117]
	v_add_f64 v[34:35], v[34:35], v[78:79]
	v_fma_f64 v[50:51], v[154:155], v[202:203], v[184:185]
	v_add_f64 v[154:155], v[146:147], -v[96:97]
	v_fma_f64 v[150:151], v[106:107], s[16:17], -v[118:119]
	v_fma_f64 v[152:153], v[108:109], s[16:17], v[120:121]
	v_add_f64 v[126:127], v[28:29], v[126:127]
	v_add_f64 v[128:129], v[30:31], v[128:129]
	v_add_f64 v[32:33], v[32:33], v[98:99]
	v_add_f64 v[34:35], v[34:35], v[88:89]
	v_fma_f64 v[98:99], v[106:107], s[16:17], v[118:119]
	v_mul_f64 v[144:145], v[154:155], s[24:25]
	v_fma_f64 v[46:47], v[158:159], v[198:199], v[188:189]
	v_fma_f64 v[118:119], v[106:107], s[26:27], -v[122:123]
	v_fma_f64 v[122:123], v[106:107], s[26:27], v[122:123]
	v_fma_f64 v[158:159], v[106:107], s[28:29], -v[102:103]
	v_fma_f64 v[160:161], v[108:109], s[28:29], v[104:105]
	v_add_f64 v[34:35], v[34:35], v[92:93]
	v_fma_f64 v[102:103], v[106:107], s[28:29], v[102:103]
	v_fma_f64 v[104:105], v[108:109], s[28:29], -v[104:105]
	v_fma_f64 v[106:107], v[94:95], s[2:3], -v[144:145]
	v_fma_f64 v[66:67], v[42:43], v[4:5], v[168:169]
	v_add_f64 v[110:111], v[28:29], v[110:111]
	v_add_f64 v[112:113], v[30:31], v[112:113]
	;; [unrolled: 1-line block ×5, first 2 shown]
	v_mul_f64 v[146:147], v[156:157], s[24:25]
	v_add_f64 v[148:149], v[30:31], v[148:149]
	v_add_f64 v[114:115], v[28:29], v[114:115]
	;; [unrolled: 1-line block ×6, first 2 shown]
	v_fma_f64 v[100:101], v[108:109], s[16:17], -v[120:121]
	v_fma_f64 v[120:121], v[108:109], s[26:27], v[124:125]
	v_fma_f64 v[124:125], v[108:109], s[26:27], -v[124:125]
	v_fma_f64 v[108:109], v[96:97], s[2:3], v[146:147]
	v_add_f64 v[98:99], v[28:29], v[98:99]
	v_add_f64 v[118:119], v[28:29], v[118:119]
	;; [unrolled: 1-line block ×8, first 2 shown]
	v_fma_f64 v[146:147], v[96:97], s[2:3], -v[146:147]
	v_fma_f64 v[168:169], v[96:97], s[26:27], v[164:165]
	v_add_f64 v[28:29], v[28:29], v[102:103]
	v_add_f64 v[30:31], v[30:31], v[104:105]
	;; [unrolled: 1-line block ×4, first 2 shown]
	v_mul_f64 v[126:127], v[154:155], s[40:41]
	v_mul_f64 v[128:129], v[156:157], s[40:41]
	v_fma_f64 v[144:145], v[94:95], s[2:3], v[144:145]
	v_add_f64 v[108:109], v[146:147], v[112:113]
	v_add_f64 v[112:113], v[168:169], v[148:149]
	v_fma_f64 v[42:43], v[162:163], v[206:207], v[192:193]
	v_mul_f64 v[162:163], v[154:155], s[20:21]
	v_fma_f64 v[40:41], v[166:167], v[0:1], v[196:197]
	v_fma_f64 v[148:149], v[96:97], s[26:27], -v[164:165]
	v_fma_f64 v[164:165], v[96:97], s[28:29], v[128:129]
	v_fma_f64 v[128:129], v[96:97], s[28:29], -v[128:129]
	v_add_f64 v[106:107], v[144:145], v[110:111]
	v_mul_f64 v[144:145], v[156:157], s[30:31]
	v_fma_f64 v[54:55], v[54:55], v[210:211], v[180:181]
	v_fma_f64 v[166:167], v[94:95], s[26:27], -v[162:163]
	v_fma_f64 v[146:147], v[94:95], s[26:27], v[162:163]
	v_fma_f64 v[162:163], v[94:95], s[28:29], -v[126:127]
	v_fma_f64 v[126:127], v[94:95], s[28:29], v[126:127]
	v_add_f64 v[100:101], v[128:129], v[100:101]
	v_add_f64 v[128:129], v[140:141], -v[90:91]
	v_fma_f64 v[168:169], v[96:97], s[16:17], v[144:145]
	v_add_f64 v[116:117], v[148:149], v[116:117]
	v_add_f64 v[110:111], v[166:167], v[130:131]
	v_mul_f64 v[130:131], v[154:155], s[30:31]
	v_add_f64 v[114:115], v[146:147], v[114:115]
	v_add_f64 v[146:147], v[162:163], v[150:151]
	;; [unrolled: 1-line block ×3, first 2 shown]
	v_add_f64 v[126:127], v[142:143], -v[92:93]
	v_mul_f64 v[150:151], v[154:155], s[38:39]
	v_add_f64 v[148:149], v[164:165], v[152:153]
	v_mul_f64 v[152:153], v[156:157], s[38:39]
	v_fma_f64 v[166:167], v[94:95], s[16:17], -v[130:131]
	v_fma_f64 v[130:131], v[94:95], s[16:17], v[130:131]
	v_fma_f64 v[144:145], v[96:97], s[16:17], -v[144:145]
	v_add_f64 v[90:91], v[140:141], v[90:91]
	v_add_f64 v[92:93], v[142:143], v[92:93]
	v_mul_f64 v[140:141], v[126:127], s[12:13]
	v_mul_f64 v[142:143], v[128:129], s[12:13]
	v_fma_f64 v[154:155], v[94:95], s[18:19], -v[150:151]
	v_fma_f64 v[156:157], v[96:97], s[18:19], v[152:153]
	v_add_f64 v[122:123], v[130:131], v[122:123]
	v_add_f64 v[124:125], v[144:145], v[124:125]
	v_fma_f64 v[94:95], v[94:95], s[18:19], v[150:151]
	v_fma_f64 v[96:97], v[96:97], s[18:19], -v[152:153]
	v_fma_f64 v[130:131], v[90:91], s[16:17], -v[140:141]
	v_fma_f64 v[144:145], v[92:93], s[16:17], v[142:143]
	v_add_f64 v[150:151], v[154:155], v[158:159]
	v_mul_f64 v[154:155], v[126:127], s[40:41]
	v_add_f64 v[152:153], v[156:157], v[160:161]
	v_mul_f64 v[156:157], v[128:129], s[40:41]
	v_add_f64 v[28:29], v[94:95], v[28:29]
	v_add_f64 v[30:31], v[96:97], v[30:31]
	;; [unrolled: 1-line block ×4, first 2 shown]
	v_fma_f64 v[102:103], v[90:91], s[16:17], v[140:141]
	v_fma_f64 v[104:105], v[92:93], s[16:17], -v[142:143]
	v_fma_f64 v[130:131], v[90:91], s[28:29], -v[154:155]
	v_mul_f64 v[142:143], v[126:127], s[36:37]
	v_fma_f64 v[140:141], v[92:93], s[28:29], v[156:157]
	v_mul_f64 v[144:145], v[128:129], s[36:37]
	v_add_f64 v[118:119], v[166:167], v[118:119]
	v_add_f64 v[120:121], v[168:169], v[120:121]
	;; [unrolled: 1-line block ×5, first 2 shown]
	v_fma_f64 v[110:111], v[90:91], s[28:29], v[154:155]
	v_fma_f64 v[130:131], v[90:91], s[2:3], -v[142:143]
	v_mul_f64 v[154:155], v[126:127], s[22:23]
	v_add_f64 v[108:109], v[140:141], v[112:113]
	v_fma_f64 v[112:113], v[92:93], s[28:29], -v[156:157]
	v_fma_f64 v[140:141], v[92:93], s[2:3], v[144:145]
	v_mul_f64 v[156:157], v[128:129], s[22:23]
	v_fma_f64 v[142:143], v[90:91], s[2:3], v[142:143]
	v_add_f64 v[110:111], v[110:111], v[114:115]
	v_add_f64 v[114:115], v[130:131], v[146:147]
	v_fma_f64 v[130:131], v[90:91], s[18:19], -v[154:155]
	v_fma_f64 v[144:145], v[92:93], s[2:3], -v[144:145]
	v_add_f64 v[112:113], v[112:113], v[116:117]
	v_add_f64 v[116:117], v[140:141], v[148:149]
	v_fma_f64 v[140:141], v[92:93], s[18:19], v[156:157]
	v_add_f64 v[98:99], v[142:143], v[98:99]
	v_fma_f64 v[142:143], v[90:91], s[18:19], v[154:155]
	v_mul_f64 v[126:127], v[126:127], s[20:21]
	v_add_f64 v[118:119], v[130:131], v[118:119]
	v_add_f64 v[130:131], v[138:139], -v[88:89]
	v_add_f64 v[100:101], v[144:145], v[100:101]
	v_fma_f64 v[144:145], v[92:93], s[18:19], -v[156:157]
	v_mul_f64 v[128:129], v[128:129], s[20:21]
	v_add_f64 v[120:121], v[140:141], v[120:121]
	v_add_f64 v[140:141], v[136:137], -v[81:82]
	v_add_f64 v[122:123], v[142:143], v[122:123]
	v_fma_f64 v[142:143], v[90:91], s[26:27], -v[126:127]
	v_add_f64 v[81:82], v[136:137], v[81:82]
	v_mul_f64 v[136:137], v[130:131], s[20:21]
	v_add_f64 v[124:125], v[144:145], v[124:125]
	v_fma_f64 v[144:145], v[92:93], s[26:27], v[128:129]
	v_add_f64 v[88:89], v[138:139], v[88:89]
	v_mul_f64 v[138:139], v[140:141], s[20:21]
	v_fma_f64 v[90:91], v[90:91], s[26:27], v[126:127]
	v_add_f64 v[126:127], v[142:143], v[150:151]
	v_mul_f64 v[142:143], v[130:131], s[30:31]
	v_fma_f64 v[146:147], v[81:82], s[26:27], -v[136:137]
	v_fma_f64 v[92:93], v[92:93], s[26:27], -v[128:129]
	v_add_f64 v[128:129], v[144:145], v[152:153]
	v_mul_f64 v[144:145], v[140:141], s[30:31]
	v_fma_f64 v[148:149], v[88:89], s[26:27], v[138:139]
	v_add_f64 v[28:29], v[90:91], v[28:29]
	v_fma_f64 v[90:91], v[81:82], s[26:27], v[136:137]
	v_fma_f64 v[136:137], v[81:82], s[16:17], -v[142:143]
	v_add_f64 v[94:95], v[146:147], v[94:95]
	v_mul_f64 v[146:147], v[130:131], s[22:23]
	v_add_f64 v[30:31], v[92:93], v[30:31]
	v_fma_f64 v[92:93], v[88:89], s[26:27], -v[138:139]
	v_fma_f64 v[138:139], v[88:89], s[16:17], v[144:145]
	v_add_f64 v[96:97], v[148:149], v[96:97]
	v_mul_f64 v[148:149], v[140:141], s[22:23]
	v_add_f64 v[90:91], v[90:91], v[102:103]
	v_add_f64 v[102:103], v[136:137], v[106:107]
	v_fma_f64 v[106:107], v[81:82], s[16:17], v[142:143]
	v_fma_f64 v[136:137], v[81:82], s[18:19], -v[146:147]
	v_mul_f64 v[142:143], v[130:131], s[34:35]
	v_add_f64 v[92:93], v[92:93], v[104:105]
	v_add_f64 v[104:105], v[138:139], v[108:109]
	v_fma_f64 v[108:109], v[88:89], s[16:17], -v[144:145]
	v_fma_f64 v[138:139], v[88:89], s[18:19], v[148:149]
	v_mul_f64 v[144:145], v[140:141], s[34:35]
	v_add_f64 v[106:107], v[106:107], v[110:111]
	v_add_f64 v[110:111], v[136:137], v[114:115]
	v_fma_f64 v[114:115], v[81:82], s[28:29], -v[142:143]
	v_mul_f64 v[130:131], v[130:131], s[36:37]
	v_fma_f64 v[136:137], v[81:82], s[28:29], v[142:143]
	v_add_f64 v[108:109], v[108:109], v[112:113]
	v_add_f64 v[112:113], v[138:139], v[116:117]
	v_fma_f64 v[116:117], v[88:89], s[28:29], v[144:145]
	v_fma_f64 v[138:139], v[88:89], s[28:29], -v[144:145]
	v_mul_f64 v[140:141], v[140:141], s[36:37]
	v_add_f64 v[114:115], v[114:115], v[118:119]
	v_add_f64 v[118:119], v[134:135], -v[78:79]
	v_fma_f64 v[146:147], v[81:82], s[18:19], v[146:147]
	v_fma_f64 v[148:149], v[88:89], s[18:19], -v[148:149]
	v_fma_f64 v[142:143], v[81:82], s[2:3], -v[130:131]
	v_add_f64 v[116:117], v[116:117], v[120:121]
	v_add_f64 v[120:121], v[132:133], -v[76:77]
	v_add_f64 v[122:123], v[136:137], v[122:123]
	v_add_f64 v[124:125], v[138:139], v[124:125]
	v_fma_f64 v[136:137], v[88:89], s[2:3], v[140:141]
	v_add_f64 v[138:139], v[132:133], v[76:77]
	v_mul_f64 v[76:77], v[118:119], s[34:35]
	v_fma_f64 v[81:82], v[81:82], s[2:3], v[130:131]
	v_fma_f64 v[88:89], v[88:89], s[2:3], -v[140:141]
	v_mul_f64 v[130:131], v[118:119], s[38:39]
	v_add_f64 v[100:101], v[148:149], v[100:101]
	v_add_f64 v[134:135], v[134:135], v[78:79]
	v_mul_f64 v[78:79], v[120:121], s[34:35]
	v_add_f64 v[128:129], v[136:137], v[128:129]
	v_mul_f64 v[132:133], v[120:121], s[38:39]
	v_fma_f64 v[136:137], v[138:139], s[28:29], -v[76:77]
	v_fma_f64 v[76:77], v[138:139], s[28:29], v[76:77]
	v_add_f64 v[148:149], v[88:89], v[30:31]
	v_fma_f64 v[30:31], v[138:139], s[18:19], -v[130:131]
	v_add_f64 v[98:99], v[146:147], v[98:99]
	v_fma_f64 v[140:141], v[134:135], s[28:29], v[78:79]
	v_add_f64 v[146:147], v[81:82], v[28:29]
	v_fma_f64 v[28:29], v[134:135], s[28:29], -v[78:79]
	v_fma_f64 v[78:79], v[134:135], s[18:19], v[132:133]
	v_add_f64 v[231:232], v[76:77], v[90:91]
	v_mul_f64 v[76:77], v[118:119], s[20:21]
	v_add_f64 v[235:236], v[30:31], v[102:103]
	v_fma_f64 v[30:31], v[138:139], s[18:19], v[130:131]
	v_mul_f64 v[102:103], v[120:121], s[36:37]
	v_mul_f64 v[81:82], v[120:121], s[20:21]
	v_add_f64 v[233:234], v[28:29], v[92:93]
	v_add_f64 v[237:238], v[78:79], v[104:105]
	v_mul_f64 v[28:29], v[118:119], s[36:37]
	v_fma_f64 v[78:79], v[134:135], s[18:19], -v[132:133]
	v_fma_f64 v[92:93], v[138:139], s[26:27], -v[76:77]
	v_fma_f64 v[76:77], v[138:139], s[26:27], v[76:77]
	v_add_f64 v[88:89], v[30:31], v[106:107]
	v_fma_f64 v[30:31], v[134:135], s[2:3], v[102:103]
	v_add_f64 v[172:173], v[74:75], -v[40:41]
	v_add_f64 v[144:145], v[72:73], -v[36:37]
	v_add_f64 v[227:228], v[136:137], v[94:95]
	v_add_f64 v[229:230], v[140:141], v[96:97]
	v_fma_f64 v[94:95], v[134:135], s[26:27], v[81:82]
	v_fma_f64 v[81:82], v[134:135], s[26:27], -v[81:82]
	v_fma_f64 v[104:105], v[138:139], s[2:3], -v[28:29]
	v_add_f64 v[90:91], v[78:79], v[108:109]
	v_add_f64 v[96:97], v[76:77], v[98:99]
	v_fma_f64 v[76:77], v[138:139], s[2:3], v[28:29]
	v_fma_f64 v[78:79], v[134:135], s[2:3], -v[102:103]
	v_add_f64 v[106:107], v[30:31], v[116:117]
	v_mul_f64 v[102:103], v[118:119], s[12:13]
	v_add_f64 v[132:133], v[72:73], v[36:37]
	v_add_f64 v[182:183], v[74:75], v[40:41]
	v_mul_f64 v[28:29], v[172:173], s[22:23]
	v_mul_f64 v[30:31], v[144:145], s[22:23]
	v_add_f64 v[180:181], v[70:71], -v[42:43]
	v_add_f64 v[158:159], v[68:69], -v[38:39]
	v_add_f64 v[126:127], v[142:143], v[126:127]
	v_add_f64 v[92:93], v[92:93], v[110:111]
	;; [unrolled: 1-line block ×6, first 2 shown]
	v_fma_f64 v[81:82], v[138:139], s[16:17], -v[102:103]
	v_mul_f64 v[118:119], v[120:121], s[12:13]
	v_fma_f64 v[100:101], v[132:133], s[18:19], v[28:29]
	v_fma_f64 v[114:115], v[182:183], s[18:19], -v[30:31]
	v_add_f64 v[142:143], v[68:69], v[38:39]
	v_add_f64 v[190:191], v[70:71], v[42:43]
	v_mul_f64 v[76:77], v[180:181], s[24:25]
	v_mul_f64 v[78:79], v[158:159], s[24:25]
	v_add_f64 v[196:197], v[66:67], -v[46:47]
	v_add_f64 v[94:95], v[94:95], v[112:113]
	v_add_f64 v[112:113], v[81:82], v[126:127]
	v_fma_f64 v[116:117], v[134:135], s[16:17], v[118:119]
	v_add_f64 v[120:121], v[24:25], v[100:101]
	v_add_f64 v[122:123], v[26:27], v[114:115]
	v_fma_f64 v[124:125], v[142:143], s[2:3], v[76:77]
	v_fma_f64 v[126:127], v[190:191], s[2:3], -v[78:79]
	v_add_f64 v[156:157], v[64:65], v[44:45]
	v_add_f64 v[192:193], v[66:67], v[46:47]
	v_mul_f64 v[81:82], v[196:197], s[12:13]
	v_mul_f64 v[100:101], v[174:175], s[12:13]
	v_add_f64 v[200:201], v[62:63], -v[50:51]
	v_add_f64 v[162:163], v[60:61], -v[48:49]
	v_add_f64 v[114:115], v[116:117], v[128:129]
	v_fma_f64 v[128:129], v[138:139], s[16:17], v[102:103]
	v_add_f64 v[120:121], v[124:125], v[120:121]
	v_add_f64 v[122:123], v[126:127], v[122:123]
	v_fma_f64 v[124:125], v[156:157], s[16:17], v[81:82]
	v_fma_f64 v[126:127], v[192:193], s[16:17], -v[100:101]
	v_add_f64 v[188:189], v[62:63], v[50:51]
	v_mul_f64 v[102:103], v[200:201], s[20:21]
	v_mul_f64 v[116:117], v[162:163], s[20:21]
	v_add_f64 v[186:187], v[58:59], -v[54:55]
	v_add_f64 v[176:177], v[56:57], -v[52:53]
	v_fma_f64 v[130:131], v[134:135], s[16:17], -v[118:119]
	v_mul_f64 v[118:119], v[172:173], s[24:25]
	v_add_f64 v[124:125], v[124:125], v[120:121]
	v_add_f64 v[126:127], v[126:127], v[122:123]
	v_fma_f64 v[134:135], v[170:171], s[26:27], v[102:103]
	v_fma_f64 v[136:137], v[188:189], s[26:27], -v[116:117]
	v_add_f64 v[184:185], v[58:59], v[54:55]
	v_mul_f64 v[120:121], v[186:187], s[34:35]
	v_mul_f64 v[122:123], v[176:177], s[34:35]
	v_add_f64 v[239:240], v[128:129], v[146:147]
	v_add_f64 v[241:242], v[130:131], v[148:149]
	v_fma_f64 v[128:129], v[132:133], s[2:3], v[118:119]
	v_add_f64 v[130:131], v[134:135], v[124:125]
	v_add_f64 v[126:127], v[136:137], v[126:127]
	v_mul_f64 v[124:125], v[180:181], s[20:21]
	v_fma_f64 v[134:135], v[178:179], s[28:29], v[120:121]
	v_fma_f64 v[136:137], v[184:185], s[28:29], -v[122:123]
	v_mul_f64 v[168:169], v[144:145], s[24:25]
	v_mul_f64 v[140:141], v[174:175], s[40:41]
	v_add_f64 v[128:129], v[24:25], v[128:129]
	v_mul_f64 v[152:153], v[172:173], s[12:13]
	v_mul_f64 v[198:199], v[144:145], s[12:13]
	;; [unrolled: 1-line block ×3, first 2 shown]
	v_add_f64 v[0:1], v[134:135], v[130:131]
	v_add_f64 v[2:3], v[136:137], v[126:127]
	v_fma_f64 v[126:127], v[142:143], s[26:27], v[124:125]
	v_fma_f64 v[130:131], v[182:183], s[2:3], -v[168:169]
	v_mul_f64 v[134:135], v[158:159], s[20:21]
	buffer_store_dword v0, off, s[48:51], 0 ; 4-byte Folded Spill
	s_nop 0
	buffer_store_dword v1, off, s[48:51], 0 offset:4 ; 4-byte Folded Spill
	buffer_store_dword v2, off, s[48:51], 0 offset:8 ; 4-byte Folded Spill
	;; [unrolled: 1-line block ×3, first 2 shown]
	v_add_f64 v[126:127], v[126:127], v[128:129]
	v_add_f64 v[128:129], v[26:27], v[130:131]
	v_fma_f64 v[130:131], v[190:191], s[26:27], -v[134:135]
	v_fma_f64 v[154:155], v[190:191], s[28:29], -v[194:195]
	v_mul_f64 v[166:167], v[174:175], s[36:37]
	v_mul_f64 v[210:211], v[172:173], s[20:21]
	;; [unrolled: 1-line block ×5, first 2 shown]
	v_mul_u32_u24_e32 v83, 0x42, v243
	v_add_f64 v[128:129], v[130:131], v[128:129]
	v_mul_f64 v[130:131], v[196:197], s[40:41]
	v_add_u32_sdwa v83, v83, v226 dst_sel:DWORD dst_unused:UNUSED_PAD src0_sel:DWORD src1_sel:BYTE_0
	v_lshl_add_u32 v83, v83, 4, v244
	v_fma_f64 v[208:209], v[190:191], s[16:17], -v[218:219]
	v_fma_f64 v[136:137], v[156:157], s[28:29], v[130:131]
	v_add_f64 v[126:127], v[136:137], v[126:127]
	v_fma_f64 v[136:137], v[192:193], s[28:29], -v[140:141]
	v_add_f64 v[138:139], v[136:137], v[128:129]
	v_mul_f64 v[128:129], v[200:201], s[30:31]
	v_fma_f64 v[136:137], v[170:171], s[16:17], v[128:129]
	v_add_f64 v[146:147], v[136:137], v[126:127]
	v_mul_f64 v[136:137], v[162:163], s[30:31]
	v_fma_f64 v[126:127], v[188:189], s[16:17], -v[136:137]
	v_add_f64 v[148:149], v[126:127], v[138:139]
	v_mul_f64 v[126:127], v[186:187], s[38:39]
	v_fma_f64 v[138:139], v[178:179], s[18:19], v[126:127]
	v_add_f64 v[0:1], v[138:139], v[146:147]
	v_mul_f64 v[138:139], v[176:177], s[38:39]
	v_fma_f64 v[146:147], v[184:185], s[18:19], -v[138:139]
	v_add_f64 v[2:3], v[146:147], v[148:149]
	v_fma_f64 v[146:147], v[132:133], s[16:17], v[152:153]
	v_mul_f64 v[148:149], v[180:181], s[40:41]
	buffer_store_dword v0, off, s[48:51], 0 offset:16 ; 4-byte Folded Spill
	s_nop 0
	buffer_store_dword v1, off, s[48:51], 0 offset:20 ; 4-byte Folded Spill
	buffer_store_dword v2, off, s[48:51], 0 offset:24 ; 4-byte Folded Spill
	;; [unrolled: 1-line block ×3, first 2 shown]
	v_add_f64 v[146:147], v[24:25], v[146:147]
	v_fma_f64 v[150:151], v[142:143], s[28:29], v[148:149]
	v_add_f64 v[146:147], v[150:151], v[146:147]
	v_fma_f64 v[150:151], v[182:183], s[16:17], -v[198:199]
	v_add_f64 v[150:151], v[26:27], v[150:151]
	v_add_f64 v[154:155], v[154:155], v[150:151]
	v_mul_f64 v[150:151], v[196:197], s[36:37]
	v_fma_f64 v[160:161], v[156:157], s[2:3], v[150:151]
	v_add_f64 v[160:161], v[160:161], v[146:147]
	v_fma_f64 v[146:147], v[192:193], s[2:3], -v[166:167]
	v_add_f64 v[154:155], v[146:147], v[154:155]
	v_mul_f64 v[146:147], v[200:201], s[22:23]
	v_fma_f64 v[164:165], v[170:171], s[18:19], v[146:147]
	v_add_f64 v[160:161], v[164:165], v[160:161]
	v_mul_f64 v[164:165], v[162:163], s[22:23]
	v_fma_f64 v[202:203], v[188:189], s[18:19], -v[164:165]
	v_add_f64 v[202:203], v[202:203], v[154:155]
	v_mul_f64 v[154:155], v[186:187], s[20:21]
	v_fma_f64 v[204:205], v[178:179], s[26:27], v[154:155]
	v_add_f64 v[0:1], v[204:205], v[160:161]
	v_mul_f64 v[160:161], v[176:177], s[20:21]
	v_fma_f64 v[204:205], v[184:185], s[26:27], -v[160:161]
	v_add_f64 v[2:3], v[204:205], v[202:203]
	v_fma_f64 v[202:203], v[132:133], s[26:27], v[210:211]
	v_fma_f64 v[204:205], v[142:143], s[16:17], v[206:207]
	buffer_store_dword v0, off, s[48:51], 0 offset:32 ; 4-byte Folded Spill
	s_nop 0
	buffer_store_dword v1, off, s[48:51], 0 offset:36 ; 4-byte Folded Spill
	buffer_store_dword v2, off, s[48:51], 0 offset:40 ; 4-byte Folded Spill
	;; [unrolled: 1-line block ×3, first 2 shown]
	v_add_f64 v[202:203], v[24:25], v[202:203]
	v_add_f64 v[202:203], v[204:205], v[202:203]
	v_fma_f64 v[204:205], v[182:183], s[26:27], -v[220:221]
	v_add_f64 v[204:205], v[26:27], v[204:205]
	v_add_f64 v[204:205], v[208:209], v[204:205]
	v_mul_f64 v[208:209], v[196:197], s[22:23]
	v_fma_f64 v[212:213], v[156:157], s[18:19], v[208:209]
	v_add_f64 v[212:213], v[212:213], v[202:203]
	v_fma_f64 v[202:203], v[192:193], s[18:19], -v[216:217]
	v_add_f64 v[204:205], v[202:203], v[204:205]
	v_mul_f64 v[202:203], v[200:201], s[34:35]
	v_fma_f64 v[214:215], v[170:171], s[28:29], v[202:203]
	v_add_f64 v[212:213], v[214:215], v[212:213]
	v_mul_f64 v[214:215], v[162:163], s[34:35]
	v_fma_f64 v[84:85], v[188:189], s[28:29], -v[214:215]
	v_add_f64 v[84:85], v[84:85], v[204:205]
	v_mul_f64 v[204:205], v[186:187], s[36:37]
	v_fma_f64 v[224:225], v[178:179], s[2:3], v[204:205]
	v_add_f64 v[0:1], v[224:225], v[212:213]
	v_mul_f64 v[212:213], v[176:177], s[36:37]
	v_fma_f64 v[224:225], v[184:185], s[2:3], -v[212:213]
	v_add_f64 v[2:3], v[224:225], v[84:85]
	buffer_store_dword v0, off, s[48:51], 0 offset:48 ; 4-byte Folded Spill
	s_nop 0
	buffer_store_dword v1, off, s[48:51], 0 offset:52 ; 4-byte Folded Spill
	buffer_store_dword v2, off, s[48:51], 0 offset:56 ; 4-byte Folded Spill
	;; [unrolled: 1-line block ×3, first 2 shown]
	s_waitcnt vmcnt(0)
	s_barrier
	ds_write_b128 v83, v[32:35]
	ds_write_b128 v83, v[227:230] offset:96
	ds_write_b128 v83, v[235:238] offset:192
	;; [unrolled: 1-line block ×10, first 2 shown]
	s_mov_b64 s[42:43], exec
	s_and_b64 s[44:45], s[42:43], s[0:1]
	buffer_store_dword v244, off, s[48:51], 0 offset:680 ; 4-byte Folded Spill
	s_mov_b64 exec, s[44:45]
	s_cbranch_execz .LBB0_5
; %bb.4:
	v_mul_f64 v[90:91], v[182:183], s[28:29]
	v_mul_f64 v[172:173], v[172:173], s[34:35]
	;; [unrolled: 1-line block ×11, first 2 shown]
	v_fma_f64 v[228:229], v[144:145], s[40:41], v[90:91]
	v_mul_f64 v[180:181], v[180:181], s[38:39]
	v_fma_f64 v[236:237], v[132:133], s[28:29], v[172:173]
	v_mul_f64 v[84:85], v[132:133], s[18:19]
	v_mul_f64 v[96:97], v[132:133], s[2:3]
	;; [unrolled: 1-line block ×5, first 2 shown]
	v_fma_f64 v[240:241], v[158:159], s[22:23], v[190:191]
	v_add_f64 v[228:229], v[26:27], v[228:229]
	v_mul_f64 v[196:197], v[196:197], s[20:21]
	v_mov_b32_e32 v2, v245
	v_fma_f64 v[244:245], v[142:143], s[18:19], v[180:181]
	v_add_f64 v[236:237], v[24:25], v[236:237]
	v_fma_f64 v[90:91], v[144:145], s[34:35], v[90:91]
	v_fma_f64 v[132:133], v[132:133], s[28:29], -v[172:173]
	s_mov_b32 s23, 0x3fe82f19
	s_mov_b32 s22, s20
	v_mul_f64 v[106:107], v[142:143], s[2:3]
	v_mul_f64 v[110:111], v[142:143], s[26:27]
	v_mul_f64 v[114:115], v[142:143], s[28:29]
	v_mul_f64 v[94:95], v[142:143], s[16:17]
	v_mul_f64 v[242:243], v[188:189], s[2:3]
	v_fma_f64 v[246:247], v[174:175], s[22:23], v[238:239]
	v_add_f64 v[228:229], v[240:241], v[228:229]
	v_mul_f64 v[200:201], v[200:201], s[36:37]
	v_fma_f64 v[250:251], v[156:157], s[26:27], v[196:197]
	v_add_f64 v[236:237], v[244:245], v[236:237]
	v_fma_f64 v[158:159], v[158:159], s[38:39], v[190:191]
	v_add_f64 v[90:91], v[26:27], v[90:91]
	v_add_f64 v[88:89], v[220:221], v[88:89]
	v_fma_f64 v[142:143], v[142:143], s[18:19], -v[180:181]
	v_add_f64 v[132:133], v[24:25], v[132:133]
	v_mul_f64 v[226:227], v[156:157], s[16:17]
	v_mul_f64 v[230:231], v[192:193], s[16:17]
	;; [unrolled: 1-line block ×7, first 2 shown]
	v_fma_f64 v[252:253], v[162:163], s[24:25], v[242:243]
	v_add_f64 v[228:229], v[246:247], v[228:229]
	v_mul_f64 v[192:193], v[192:193], s[18:19]
	v_fma_f64 v[144:145], v[170:171], s[2:3], v[200:201]
	v_add_f64 v[236:237], v[250:251], v[236:237]
	v_fma_f64 v[174:175], v[174:175], s[20:21], v[238:239]
	v_add_f64 v[90:91], v[158:159], v[90:91]
	v_add_f64 v[218:219], v[218:219], v[224:225]
	v_fma_f64 v[156:157], v[156:157], s[26:27], -v[196:197]
	v_add_f64 v[88:89], v[26:27], v[88:89]
	v_add_f64 v[132:133], v[142:143], v[132:133]
	v_mul_f64 v[246:247], v[170:171], s[26:27]
	v_mul_f64 v[250:251], v[188:189], s[26:27]
	;; [unrolled: 1-line block ×3, first 2 shown]
	v_add_f64 v[228:229], v[252:253], v[228:229]
	v_mul_f64 v[252:253], v[188:189], s[16:17]
	v_mul_f64 v[190:191], v[170:171], s[18:19]
	v_add_f64 v[144:145], v[144:145], v[236:237]
	v_mul_f64 v[236:237], v[188:189], s[18:19]
	v_mul_f64 v[172:173], v[170:171], s[28:29]
	;; [unrolled: 1-line block ×4, first 2 shown]
	v_add_f64 v[192:193], v[216:217], v[192:193]
	v_add_f64 v[88:89], v[218:219], v[88:89]
	v_fma_f64 v[162:163], v[162:163], s[36:37], v[242:243]
	v_add_f64 v[90:91], v[174:175], v[90:91]
	v_fma_f64 v[170:171], v[170:171], s[2:3], -v[200:201]
	v_add_f64 v[132:133], v[156:157], v[132:133]
	v_mul_f64 v[238:239], v[178:179], s[28:29]
	v_mul_f64 v[220:221], v[178:179], s[18:19]
	;; [unrolled: 1-line block ×4, first 2 shown]
	v_fma_f64 v[218:219], v[178:179], s[16:17], v[186:187]
	v_add_f64 v[156:157], v[214:215], v[188:189]
	v_add_f64 v[88:89], v[192:193], v[88:89]
	;; [unrolled: 1-line block ×3, first 2 shown]
	v_fma_f64 v[162:163], v[178:179], s[16:17], -v[186:187]
	v_add_f64 v[132:133], v[170:171], v[132:133]
	v_add_f64 v[178:179], v[198:199], v[32:33]
	;; [unrolled: 1-line block ×4, first 2 shown]
	v_add_f64 v[28:29], v[84:85], -v[28:29]
	v_mul_f64 v[196:197], v[184:185], s[16:17]
	v_add_f64 v[156:157], v[156:157], v[88:89]
	v_add_f64 v[74:75], v[26:27], v[74:75]
	;; [unrolled: 1-line block ×6, first 2 shown]
	v_add_f64 v[30:31], v[106:107], -v[76:77]
	v_add_f64 v[28:29], v[24:25], v[28:29]
	v_add_f64 v[34:35], v[34:35], -v[210:211]
	v_fma_f64 v[210:211], v[176:177], s[30:31], v[196:197]
	v_fma_f64 v[174:175], v[176:177], s[12:13], v[196:197]
	v_add_f64 v[176:177], v[244:245], -v[208:209]
	v_mov_b32_e32 v245, v2
	buffer_load_dword v2, off, s[48:51], 0 offset:64 ; 4-byte Folded Reload
	v_add_f64 v[72:73], v[24:25], v[72:73]
	v_add_f64 v[28:29], v[30:31], v[28:29]
	v_add_f64 v[30:31], v[0:1], -v[128:129]
	buffer_load_dword v0, off, s[48:51], 0 offset:356 ; 4-byte Folded Reload
	v_add_f64 v[70:71], v[74:75], v[70:71]
	v_mul_f64 v[158:159], v[184:185], s[28:29]
	v_mul_f64 v[180:181], v[184:185], s[18:19]
	;; [unrolled: 1-line block ×3, first 2 shown]
	v_add_f64 v[68:69], v[72:73], v[68:69]
	v_mul_f64 v[184:185], v[184:185], s[2:3]
	v_add_f64 v[94:95], v[94:95], -v[206:207]
	v_add_f64 v[34:35], v[24:25], v[34:35]
	v_add_f64 v[66:67], v[70:71], v[66:67]
	v_add_f64 v[104:105], v[104:105], -v[152:153]
	v_add_f64 v[78:79], v[78:79], v[108:109]
	v_add_f64 v[112:113], v[134:135], v[112:113]
	;; [unrolled: 1-line block ×8, first 2 shown]
	v_add_f64 v[132:133], v[172:173], -v[202:203]
	v_add_f64 v[74:75], v[114:115], -v[148:149]
	v_add_f64 v[60:61], v[64:65], v[60:61]
	v_add_f64 v[26:27], v[78:79], v[26:27]
	;; [unrolled: 1-line block ×5, first 2 shown]
	v_add_f64 v[62:63], v[110:111], -v[124:125]
	v_add_f64 v[94:95], v[170:171], v[156:157]
	v_add_f64 v[156:157], v[194:195], v[182:183]
	;; [unrolled: 1-line block ×3, first 2 shown]
	v_add_f64 v[60:61], v[96:97], -v[118:119]
	v_add_f64 v[98:99], v[112:113], v[98:99]
	v_add_f64 v[132:133], v[132:133], v[144:145]
	;; [unrolled: 1-line block ×8, first 2 shown]
	v_add_f64 v[60:61], v[226:227], -v[81:82]
	v_add_f64 v[56:57], v[232:233], -v[130:131]
	v_add_f64 v[50:51], v[54:55], v[50:51]
	v_add_f64 v[70:71], v[240:241], -v[150:151]
	v_add_f64 v[74:75], v[74:75], v[104:105]
	v_add_f64 v[26:27], v[58:59], v[26:27]
	;; [unrolled: 1-line block ×5, first 2 shown]
	v_add_f64 v[54:55], v[246:247], -v[102:103]
	v_add_f64 v[46:47], v[50:51], v[46:47]
	v_add_f64 v[28:29], v[60:61], v[28:29]
	;; [unrolled: 1-line block ×9, first 2 shown]
	v_add_f64 v[66:67], v[190:191], -v[146:147]
	v_add_f64 v[70:71], v[70:71], v[74:75]
	v_add_f64 v[50:51], v[122:123], v[158:159]
	v_add_f64 v[44:45], v[44:45], v[38:39]
	v_add_f64 v[52:53], v[52:53], v[26:27]
	v_add_f64 v[56:57], v[238:239], -v[120:121]
	v_add_f64 v[28:29], v[54:55], v[28:29]
	v_add_f64 v[42:43], v[42:43], v[40:41]
	v_add_f64 v[74:75], v[138:139], v[180:181]
	v_add_f64 v[92:93], v[104:105], v[98:99]
	;; [unrolled: 5-line block ×3, first 2 shown]
	v_add_f64 v[64:65], v[224:225], -v[154:155]
	v_add_f64 v[46:47], v[66:67], v[70:71]
	v_add_f64 v[170:171], v[216:217], -v[204:205]
	v_add_f64 v[38:39], v[50:51], v[52:53]
	v_add_f64 v[36:37], v[56:57], v[28:29]
	;; [unrolled: 1-line block ×4, first 2 shown]
	s_waitcnt vmcnt(0)
	v_mul_u32_u24_e32 v44, 0x42, v0
	buffer_load_dword v0, off, s[48:51], 0 offset:360 ; 4-byte Folded Reload
	v_add_f64 v[26:27], v[68:69], v[72:73]
	v_add_f64 v[24:25], v[64:65], v[46:47]
	;; [unrolled: 1-line block ×4, first 2 shown]
	v_lshlrev_b32_e32 v244, 4, v2
	v_add_f64 v[34:35], v[210:211], v[228:229]
	s_waitcnt vmcnt(0)
	v_add_u32_sdwa v44, v44, v0 dst_sel:DWORD dst_unused:UNUSED_PAD src0_sel:DWORD src1_sel:BYTE_0
	v_lshl_add_u32 v44, v44, 4, v244
	ds_write_b128 v44, v[40:43]
	ds_write_b128 v44, v[36:39] offset:96
	ds_write_b128 v44, v[28:31] offset:192
	;; [unrolled: 1-line block ×6, first 2 shown]
	buffer_load_dword v0, off, s[48:51], 0 offset:48 ; 4-byte Folded Reload
	buffer_load_dword v1, off, s[48:51], 0 offset:52 ; 4-byte Folded Reload
	buffer_load_dword v2, off, s[48:51], 0 offset:56 ; 4-byte Folded Reload
	buffer_load_dword v3, off, s[48:51], 0 offset:60 ; 4-byte Folded Reload
	s_waitcnt vmcnt(0)
	ds_write_b128 v44, v[0:3] offset:672
	buffer_load_dword v0, off, s[48:51], 0 offset:32 ; 4-byte Folded Reload
	buffer_load_dword v1, off, s[48:51], 0 offset:36 ; 4-byte Folded Reload
	buffer_load_dword v2, off, s[48:51], 0 offset:40 ; 4-byte Folded Reload
	buffer_load_dword v3, off, s[48:51], 0 offset:44 ; 4-byte Folded Reload
	s_waitcnt vmcnt(0)
	ds_write_b128 v44, v[0:3] offset:768
	;; [unrolled: 6-line block ×3, first 2 shown]
	buffer_load_dword v0, off, s[48:51], 0  ; 4-byte Folded Reload
	buffer_load_dword v1, off, s[48:51], 0 offset:4 ; 4-byte Folded Reload
	buffer_load_dword v2, off, s[48:51], 0 offset:8 ; 4-byte Folded Reload
	;; [unrolled: 1-line block ×3, first 2 shown]
	s_waitcnt vmcnt(0)
	ds_write_b128 v44, v[0:3] offset:960
.LBB0_5:
	s_or_b64 exec, exec, s[42:43]
	s_movk_i32 s2, 0x108
	v_add_co_u32_e32 v176, vcc, s2, v254
	s_movk_i32 s2, 0x14a
	v_add_co_u32_e32 v177, vcc, 0xc6, v254
	v_add_co_u32_e32 v82, vcc, s2, v254
	v_lshlrev_b32_e32 v76, 4, v254
	v_add_co_u32_e32 v78, vcc, s8, v76
	v_mov_b32_e32 v24, s9
	buffer_load_dword v0, off, s[48:51], 0 offset:64 ; 4-byte Folded Reload
	v_addc_co_u32_e32 v79, vcc, 0, v24, vcc
	s_waitcnt vmcnt(0) lgkmcnt(0)
	s_barrier
	ds_read_b128 v[56:59], v87
	ds_read_b128 v[60:63], v87 offset:9504
	ds_read_b128 v[52:55], v87 offset:1056
	;; [unrolled: 1-line block ×17, first 2 shown]
	global_load_dwordx4 v[100:103], v76, s[10:11] offset:960
	s_movk_i32 s2, 0xf9
	v_add_u32_e32 v132, 0x18c, v254
	v_add_u32_e32 v136, 0x1ce, v254
	;; [unrolled: 1-line block ×3, first 2 shown]
	v_mov_b32_e32 v178, s11
	s_mov_b32 s9, 0xbfebb67a
	s_movk_i32 s12, 0x1860
	v_lshl_add_u32 v81, v0, 4, v222
	s_waitcnt vmcnt(0) lgkmcnt(14)
	v_mul_f64 v[76:77], v[62:63], v[102:103]
	v_fma_f64 v[76:77], v[60:61], v[100:101], -v[76:77]
	v_mul_f64 v[60:61], v[60:61], v[102:103]
	v_fma_f64 v[62:63], v[62:63], v[100:101], v[60:61]
	v_mul_f64 v[60:61], v[66:67], v[102:103]
	v_add_f64 v[62:63], v[58:59], -v[62:63]
	v_fma_f64 v[84:85], v[64:65], v[100:101], -v[60:61]
	v_mul_f64 v[60:61], v[64:65], v[102:103]
	v_fma_f64 v[58:59], v[58:59], 2.0, -v[62:63]
	v_fma_f64 v[112:113], v[66:67], v[100:101], v[60:61]
	v_mul_lo_u16_sdwa v60, v245, s2 dst_sel:DWORD dst_unused:UNUSED_PAD src0_sel:BYTE_0 src1_sel:DWORD
	v_lshrrev_b16_e32 v60, 14, v60
	v_mul_lo_u16_e32 v60, 0x42, v60
	v_sub_u16_e32 v60, v245, v60
	v_mov_b32_e32 v61, 4
	v_lshlrev_b32_sdwa v160, v61, v60 dst_sel:DWORD dst_unused:UNUSED_PAD src0_sel:DWORD src1_sel:BYTE_0
	global_load_dwordx4 v[116:119], v160, s[10:11] offset:960
	s_mov_b32 s2, 0xf83f
	v_mul_u32_u24_sdwa v64, v176, s2 dst_sel:DWORD dst_unused:UNUSED_PAD src0_sel:WORD_0 src1_sel:DWORD
	v_mul_u32_u24_sdwa v168, v82, s2 dst_sel:DWORD dst_unused:UNUSED_PAD src0_sel:WORD_0 src1_sel:DWORD
	v_add_f64 v[65:66], v[52:53], -v[84:85]
	v_add_u32_e32 v0, v244, v160
	v_fma_f64 v[52:53], v[52:53], 2.0, -v[65:66]
	s_waitcnt vmcnt(0) lgkmcnt(12)
	v_mul_f64 v[60:61], v[70:71], v[118:119]
	v_fma_f64 v[114:115], v[68:69], v[116:117], -v[60:61]
	v_mul_f64 v[60:61], v[68:69], v[118:119]
	v_add_f64 v[67:68], v[54:55], -v[112:113]
	v_fma_f64 v[144:145], v[70:71], v[116:117], v[60:61]
	v_mul_u32_u24_sdwa v60, v177, s2 dst_sel:DWORD dst_unused:UNUSED_PAD src0_sel:WORD_0 src1_sel:DWORD
	v_lshrrev_b32_e32 v60, 22, v60
	v_mul_lo_u16_e32 v60, 0x42, v60
	v_sub_u16_e32 v60, v177, v60
	v_lshlrev_b32_e32 v161, 4, v60
	global_load_dwordx4 v[120:123], v161, s[10:11] offset:960
	v_add_f64 v[69:70], v[48:49], -v[114:115]
	v_fma_f64 v[54:55], v[54:55], 2.0, -v[67:68]
	v_fma_f64 v[48:49], v[48:49], 2.0, -v[69:70]
	s_waitcnt vmcnt(0) lgkmcnt(10)
	v_mul_f64 v[60:61], v[74:75], v[122:123]
	v_fma_f64 v[146:147], v[72:73], v[120:121], -v[60:61]
	v_mul_f64 v[60:61], v[72:73], v[122:123]
	v_add_f64 v[71:72], v[50:51], -v[144:145]
	v_fma_f64 v[148:149], v[74:75], v[120:121], v[60:61]
	v_lshrrev_b32_e32 v60, 22, v64
	v_mul_lo_u16_e32 v60, 0x42, v60
	v_sub_u16_e32 v60, v176, v60
	v_lshlrev_b32_e32 v162, 4, v60
	global_load_dwordx4 v[124:127], v162, s[10:11] offset:960
	v_add_f64 v[73:74], v[44:45], -v[146:147]
	v_fma_f64 v[50:51], v[50:51], 2.0, -v[71:72]
	v_lshrrev_b32_e32 v64, 23, v64
	v_mul_lo_u16_e32 v64, 0x84, v64
	v_sub_u16_e32 v183, v176, v64
	v_lshlrev_b16_e32 v64, 5, v183
	v_fma_f64 v[44:45], v[44:45], 2.0, -v[73:74]
	s_waitcnt vmcnt(0) lgkmcnt(8)
	v_mul_f64 v[60:61], v[90:91], v[126:127]
	v_fma_f64 v[150:151], v[88:89], v[124:125], -v[60:61]
	v_mul_f64 v[60:61], v[88:89], v[126:127]
	v_add_f64 v[88:89], v[40:41], -v[150:151]
	v_fma_f64 v[90:91], v[90:91], v[124:125], v[60:61]
	v_lshrrev_b32_e32 v60, 22, v168
	v_mul_lo_u16_e32 v60, 0x42, v60
	v_sub_u16_e32 v60, v82, v60
	v_lshlrev_b32_e32 v163, 4, v60
	global_load_dwordx4 v[128:131], v163, s[10:11] offset:960
	v_fma_f64 v[40:41], v[40:41], 2.0, -v[88:89]
	v_add_f64 v[90:91], v[42:43], -v[90:91]
	v_fma_f64 v[42:43], v[42:43], 2.0, -v[90:91]
	s_waitcnt vmcnt(0) lgkmcnt(6)
	v_mul_f64 v[60:61], v[94:95], v[130:131]
	v_fma_f64 v[152:153], v[92:93], v[128:129], -v[60:61]
	v_mul_f64 v[60:61], v[92:93], v[130:131]
	v_add_f64 v[92:93], v[36:37], -v[152:153]
	v_fma_f64 v[94:95], v[94:95], v[128:129], v[60:61]
	v_mul_u32_u24_sdwa v60, v132, s2 dst_sel:DWORD dst_unused:UNUSED_PAD src0_sel:WORD_0 src1_sel:DWORD
	v_lshrrev_b32_e32 v60, 22, v60
	v_mul_lo_u16_e32 v60, 0x42, v60
	v_sub_u16_e32 v60, v132, v60
	v_lshlrev_b32_e32 v164, 4, v60
	global_load_dwordx4 v[132:135], v164, s[10:11] offset:960
	v_fma_f64 v[36:37], v[36:37], 2.0, -v[92:93]
	v_add_f64 v[94:95], v[38:39], -v[94:95]
	v_fma_f64 v[38:39], v[38:39], 2.0, -v[94:95]
	s_waitcnt vmcnt(0) lgkmcnt(4)
	v_mul_f64 v[60:61], v[98:99], v[134:135]
	v_fma_f64 v[154:155], v[96:97], v[132:133], -v[60:61]
	v_mul_f64 v[60:61], v[96:97], v[134:135]
	v_add_f64 v[96:97], v[32:33], -v[154:155]
	v_fma_f64 v[98:99], v[98:99], v[132:133], v[60:61]
	v_mul_u32_u24_sdwa v60, v136, s2 dst_sel:DWORD dst_unused:UNUSED_PAD src0_sel:WORD_0 src1_sel:DWORD
	;; [unrolled: 15-line block ×3, first 2 shown]
	v_lshrrev_b32_e32 v60, 22, v60
	v_mul_lo_u16_e32 v60, 0x42, v60
	v_sub_u16_e32 v60, v140, v60
	v_lshlrev_b32_e32 v166, 4, v60
	global_load_dwordx4 v[140:143], v166, s[10:11] offset:960
	v_fma_f64 v[28:29], v[28:29], 2.0, -v[104:105]
	v_add_f64 v[106:107], v[30:31], -v[106:107]
	s_waitcnt vmcnt(0) lgkmcnt(0)
	s_barrier
	s_mov_b32 s2, 0xe8584caa
	s_mov_b32 s3, 0x3febb67a
	;; [unrolled: 1-line block ×3, first 2 shown]
	v_fma_f64 v[30:31], v[30:31], 2.0, -v[106:107]
	v_mul_f64 v[60:61], v[110:111], v[142:143]
	v_fma_f64 v[158:159], v[108:109], v[140:141], -v[60:61]
	v_mul_f64 v[60:61], v[108:109], v[142:143]
	v_add_f64 v[108:109], v[24:25], -v[158:159]
	v_fma_f64 v[110:111], v[110:111], v[140:141], v[60:61]
	v_add_f64 v[60:61], v[56:57], -v[76:77]
	v_add_f64 v[75:76], v[46:47], -v[148:149]
	v_fma_f64 v[24:25], v[24:25], 2.0, -v[108:109]
	v_add_f64 v[110:111], v[26:27], -v[110:111]
	v_fma_f64 v[56:57], v[56:57], 2.0, -v[60:61]
	v_fma_f64 v[46:47], v[46:47], 2.0, -v[75:76]
	ds_write_b128 v87, v[56:59]
	ds_write_b128 v87, v[60:63] offset:1056
	ds_write_b128 v87, v[52:55] offset:2112
	;; [unrolled: 1-line block ×3, first 2 shown]
	v_fma_f64 v[26:27], v[26:27], 2.0, -v[110:111]
	ds_write_b128 v0, v[48:51] offset:4224
	buffer_store_dword v0, off, s[48:51], 0 offset:64 ; 4-byte Folded Spill
	ds_write_b128 v0, v[69:72] offset:5280
	v_add_u32_e32 v0, v244, v161
	ds_write_b128 v0, v[44:47] offset:6336
	buffer_store_dword v0, off, s[48:51], 0 offset:364 ; 4-byte Folded Spill
	ds_write_b128 v0, v[73:76] offset:7392
	v_add_u32_e32 v0, v244, v162
	;; [unrolled: 4-line block ×6, first 2 shown]
	v_lshlrev_b32_e32 v73, 5, v254
	ds_write_b128 v0, v[24:27] offset:16896
	buffer_store_dword v0, off, s[48:51], 0 offset:384 ; 4-byte Folded Spill
	ds_write_b128 v0, v[108:111] offset:17952
	s_waitcnt vmcnt(0) lgkmcnt(0)
	s_barrier
	ds_read_b128 v[44:47], v87
	ds_read_b128 v[56:59], v87 offset:6336
	ds_read_b128 v[60:63], v87 offset:12672
	ds_read_b128 v[40:43], v87 offset:1056
	ds_read_b128 v[65:68], v87 offset:7392
	ds_read_b128 v[69:72], v87 offset:13728
	ds_read_b128 v[36:39], v87 offset:2112
	ds_read_b128 v[74:77], v87 offset:8448
	ds_read_b128 v[88:91], v87 offset:14784
	ds_read_b128 v[32:35], v87 offset:3168
	ds_read_b128 v[92:95], v87 offset:9504
	ds_read_b128 v[96:99], v87 offset:15840
	ds_read_b128 v[28:31], v87 offset:4224
	ds_read_b128 v[104:107], v87 offset:10560
	ds_read_b128 v[108:111], v87 offset:16896
	ds_read_b128 v[24:27], v87 offset:5280
	ds_read_b128 v[52:55], v87 offset:11616
	ds_read_b128 v[48:51], v87 offset:17952
	global_load_dwordx4 v[144:147], v73, s[10:11] offset:2032
	global_load_dwordx4 v[148:151], v73, s[10:11] offset:2016
	v_add_co_u32_e32 v179, vcc, s10, v73
	v_addc_co_u32_e32 v180, vcc, 0, v178, vcc
	v_lshl_add_u32 v0, v183, 4, v244
	s_waitcnt vmcnt(0) lgkmcnt(14)
	v_mul_f64 v[84:85], v[58:59], v[150:151]
	v_fma_f64 v[84:85], v[56:57], v[148:149], -v[84:85]
	v_mul_f64 v[56:57], v[56:57], v[150:151]
	v_fma_f64 v[112:113], v[58:59], v[148:149], v[56:57]
	v_mul_f64 v[56:57], v[62:63], v[146:147]
	v_fma_f64 v[114:115], v[60:61], v[144:145], -v[56:57]
	v_mul_f64 v[56:57], v[60:61], v[146:147]
	v_fma_f64 v[185:186], v[62:63], v[144:145], v[56:57]
	v_lshlrev_b32_e32 v56, 5, v223
	global_load_dwordx4 v[152:155], v56, s[10:11] offset:2032
	global_load_dwordx4 v[156:159], v56, s[10:11] offset:2016
	v_add_co_u32_e32 v181, vcc, s10, v56
	v_addc_co_u32_e32 v182, vcc, 0, v178, vcc
	v_add_co_u32_e32 v64, vcc, s10, v64
	s_movk_i32 s11, 0x1000
	s_waitcnt vmcnt(1) lgkmcnt(6)
	v_mul_f64 v[60:61], v[98:99], v[154:155]
	s_waitcnt vmcnt(0)
	v_mul_f64 v[56:57], v[67:68], v[158:159]
	v_mul_f64 v[58:59], v[92:93], v[158:159]
	;; [unrolled: 1-line block ×3, first 2 shown]
	v_fma_f64 v[60:61], v[96:97], v[152:153], -v[60:61]
	v_fma_f64 v[187:188], v[65:66], v[156:157], -v[56:57]
	v_mul_f64 v[56:57], v[65:66], v[158:159]
	v_addc_co_u32_e32 v65, vcc, 0, v178, vcc
	global_load_dwordx4 v[160:163], v[64:65], off offset:2032
	global_load_dwordx4 v[164:167], v[64:65], off offset:2016
	v_fma_f64 v[58:59], v[94:95], v[156:157], v[58:59]
	v_fma_f64 v[62:63], v[98:99], v[152:153], v[62:63]
	;; [unrolled: 1-line block ×3, first 2 shown]
	v_mul_f64 v[56:57], v[71:72], v[154:155]
	v_fma_f64 v[191:192], v[69:70], v[152:153], -v[56:57]
	v_mul_f64 v[56:57], v[69:70], v[154:155]
	v_fma_f64 v[193:194], v[71:72], v[152:153], v[56:57]
	v_mul_f64 v[56:57], v[76:77], v[150:151]
	v_fma_f64 v[72:73], v[74:75], v[148:149], -v[56:57]
	v_mul_f64 v[56:57], v[74:75], v[150:151]
	v_fma_f64 v[74:75], v[76:77], v[148:149], v[56:57]
	v_mul_f64 v[56:57], v[90:91], v[146:147]
	v_fma_f64 v[76:77], v[88:89], v[144:145], -v[56:57]
	v_mul_f64 v[56:57], v[88:89], v[146:147]
	v_lshrrev_b32_e32 v88, 23, v168
	v_mul_lo_u16_e32 v88, 0x84, v88
	v_sub_u16_e32 v184, v82, v88
	v_lshlrev_b16_e32 v88, 5, v184
	v_add_co_u32_e32 v88, vcc, s10, v88
	v_addc_co_u32_e32 v89, vcc, 0, v178, vcc
	global_load_dwordx4 v[168:171], v[88:89], off offset:2032
	global_load_dwordx4 v[172:175], v[88:89], off offset:2016
	v_fma_f64 v[195:196], v[90:91], v[144:145], v[56:57]
	v_mul_f64 v[56:57], v[94:95], v[158:159]
	v_add_f64 v[90:91], v[189:190], -v[193:194]
	v_add_f64 v[94:95], v[187:188], -v[191:192]
	s_waitcnt vmcnt(0) lgkmcnt(0)
	s_barrier
	v_lshlrev_b32_e32 v82, 5, v82
	v_add_f64 v[98:99], v[74:75], -v[195:196]
	v_fma_f64 v[56:57], v[92:93], v[156:157], -v[56:57]
	v_mul_f64 v[68:69], v[110:111], v[162:163]
	v_mul_f64 v[64:65], v[106:107], v[166:167]
	;; [unrolled: 1-line block ×4, first 2 shown]
	v_fma_f64 v[68:69], v[108:109], v[160:161], -v[68:69]
	v_fma_f64 v[64:65], v[104:105], v[164:165], -v[64:65]
	v_fma_f64 v[66:67], v[106:107], v[164:165], v[66:67]
	v_fma_f64 v[70:71], v[110:111], v[160:161], v[70:71]
	v_mul_f64 v[88:89], v[54:55], v[174:175]
	v_fma_f64 v[197:198], v[52:53], v[172:173], -v[88:89]
	v_mul_f64 v[52:53], v[52:53], v[174:175]
	v_fma_f64 v[199:200], v[54:55], v[172:173], v[52:53]
	v_mul_f64 v[52:53], v[50:51], v[170:171]
	v_add_f64 v[54:55], v[112:113], v[185:186]
	v_fma_f64 v[201:202], v[48:49], v[168:169], -v[52:53]
	v_mul_f64 v[48:49], v[48:49], v[170:171]
	v_add_f64 v[52:53], v[112:113], -v[185:186]
	v_fma_f64 v[54:55], v[54:55], -0.5, v[46:47]
	v_fma_f64 v[203:204], v[50:51], v[168:169], v[48:49]
	v_add_f64 v[50:51], v[84:85], v[114:115]
	v_add_f64 v[48:49], v[44:45], v[84:85]
	v_add_f64 v[84:85], v[84:85], -v[114:115]
	v_fma_f64 v[50:51], v[50:51], -0.5, v[44:45]
	v_add_f64 v[48:49], v[48:49], v[114:115]
	v_fma_f64 v[44:45], v[52:53], s[2:3], v[50:51]
	v_fma_f64 v[52:53], v[52:53], s[8:9], v[50:51]
	v_add_f64 v[50:51], v[46:47], v[112:113]
	v_fma_f64 v[46:47], v[84:85], s[8:9], v[54:55]
	v_fma_f64 v[54:55], v[84:85], s[2:3], v[54:55]
	v_add_f64 v[84:85], v[40:41], v[187:188]
	v_add_f64 v[50:51], v[50:51], v[185:186]
	;; [unrolled: 1-line block ×4, first 2 shown]
	v_fma_f64 v[84:85], v[84:85], -0.5, v[40:41]
	v_fma_f64 v[40:41], v[90:91], s[2:3], v[84:85]
	v_fma_f64 v[92:93], v[90:91], s[8:9], v[84:85]
	v_add_f64 v[84:85], v[42:43], v[189:190]
	v_add_f64 v[90:91], v[84:85], v[193:194]
	;; [unrolled: 1-line block ×3, first 2 shown]
	v_fma_f64 v[84:85], v[84:85], -0.5, v[42:43]
	v_fma_f64 v[42:43], v[94:95], s[8:9], v[84:85]
	v_fma_f64 v[94:95], v[94:95], s[2:3], v[84:85]
	v_add_f64 v[84:85], v[36:37], v[72:73]
	v_add_f64 v[96:97], v[84:85], v[76:77]
	;; [unrolled: 1-line block ×3, first 2 shown]
	v_add_f64 v[72:73], v[72:73], -v[76:77]
	v_add_f64 v[76:77], v[58:59], -v[62:63]
	v_fma_f64 v[84:85], v[84:85], -0.5, v[36:37]
	v_fma_f64 v[36:37], v[98:99], s[2:3], v[84:85]
	v_fma_f64 v[104:105], v[98:99], s[8:9], v[84:85]
	v_add_f64 v[84:85], v[38:39], v[74:75]
	v_add_f64 v[74:75], v[74:75], v[195:196]
	;; [unrolled: 1-line block ×3, first 2 shown]
	v_fma_f64 v[74:75], v[74:75], -0.5, v[38:39]
	v_fma_f64 v[38:39], v[72:73], s[8:9], v[74:75]
	v_fma_f64 v[106:107], v[72:73], s[2:3], v[74:75]
	v_add_f64 v[74:75], v[56:57], v[60:61]
	v_add_f64 v[72:73], v[32:33], v[56:57]
	v_add_f64 v[56:57], v[56:57], -v[60:61]
	v_fma_f64 v[74:75], v[74:75], -0.5, v[32:33]
	v_add_f64 v[72:73], v[72:73], v[60:61]
	v_add_f64 v[60:61], v[66:67], -v[70:71]
	v_fma_f64 v[32:33], v[76:77], s[2:3], v[74:75]
	v_fma_f64 v[108:109], v[76:77], s[8:9], v[74:75]
	v_add_f64 v[74:75], v[34:35], v[58:59]
	v_add_f64 v[58:59], v[58:59], v[62:63]
	v_add_f64 v[76:77], v[197:198], -v[201:202]
	v_add_f64 v[74:75], v[74:75], v[62:63]
	v_fma_f64 v[58:59], v[58:59], -0.5, v[34:35]
	v_add_f64 v[62:63], v[66:67], v[70:71]
	v_fma_f64 v[34:35], v[56:57], s[8:9], v[58:59]
	v_fma_f64 v[110:111], v[56:57], s[2:3], v[58:59]
	v_add_f64 v[58:59], v[64:65], v[68:69]
	v_add_f64 v[56:57], v[28:29], v[64:65]
	v_fma_f64 v[62:63], v[62:63], -0.5, v[30:31]
	v_add_f64 v[64:65], v[64:65], -v[68:69]
	ds_write_b128 v87, v[48:51]
	ds_write_b128 v87, v[44:47] offset:2112
	ds_write_b128 v87, v[52:55] offset:4224
	;; [unrolled: 1-line block ×11, first 2 shown]
	v_add_co_u32_e32 v72, vcc, s12, v179
	v_addc_co_u32_e32 v73, vcc, 0, v180, vcc
	v_fma_f64 v[58:59], v[58:59], -0.5, v[28:29]
	v_add_f64 v[56:57], v[56:57], v[68:69]
	v_add_f64 v[68:69], v[199:200], -v[203:204]
	v_add_co_u32_e32 v84, vcc, s11, v179
	v_addc_co_u32_e32 v85, vcc, 0, v180, vcc
	v_fma_f64 v[28:29], v[60:61], s[2:3], v[58:59]
	v_fma_f64 v[60:61], v[60:61], s[8:9], v[58:59]
	v_add_f64 v[58:59], v[30:31], v[66:67]
	v_add_f64 v[66:67], v[197:198], v[201:202]
	v_fma_f64 v[30:31], v[64:65], s[8:9], v[62:63]
	v_fma_f64 v[62:63], v[64:65], s[2:3], v[62:63]
	v_add_f64 v[64:65], v[24:25], v[197:198]
	v_add_f64 v[58:59], v[58:59], v[70:71]
	v_fma_f64 v[66:67], v[66:67], -0.5, v[24:25]
	v_add_f64 v[70:71], v[199:200], v[203:204]
	ds_write_b128 v0, v[56:59] offset:12672
	ds_write_b128 v0, v[28:31] offset:14784
	v_fma_f64 v[24:25], v[68:69], s[2:3], v[66:67]
	v_fma_f64 v[68:69], v[68:69], s[8:9], v[66:67]
	v_add_f64 v[66:67], v[26:27], v[199:200]
	v_fma_f64 v[70:71], v[70:71], -0.5, v[26:27]
	v_add_f64 v[64:65], v[64:65], v[201:202]
	buffer_store_dword v0, off, s[48:51], 0 offset:388 ; 4-byte Folded Spill
	ds_write_b128 v0, v[60:63] offset:16896
	v_lshl_add_u32 v0, v184, 4, v244
	v_add_f64 v[66:67], v[66:67], v[203:204]
	v_fma_f64 v[26:27], v[76:77], s[8:9], v[70:71]
	v_fma_f64 v[70:71], v[76:77], s[2:3], v[70:71]
	ds_write_b128 v0, v[64:67] offset:12672
	ds_write_b128 v0, v[24:27] offset:14784
	buffer_store_dword v0, off, s[48:51], 0 offset:392 ; 4-byte Folded Spill
	ds_write_b128 v0, v[68:71] offset:16896
	s_waitcnt vmcnt(0) lgkmcnt(0)
	s_barrier
	ds_read_b128 v[44:47], v87
	ds_read_b128 v[56:59], v87 offset:6336
	ds_read_b128 v[60:63], v87 offset:12672
	;; [unrolled: 1-line block ×17, first 2 shown]
	global_load_dwordx4 v[188:191], v[84:85], off offset:2144
	global_load_dwordx4 v[184:187], v[72:73], off offset:16
	s_waitcnt vmcnt(1) lgkmcnt(14)
	v_mul_f64 v[72:73], v[58:59], v[190:191]
	v_fma_f64 v[84:85], v[56:57], v[188:189], -v[72:73]
	v_mul_f64 v[56:57], v[56:57], v[190:191]
	v_fma_f64 v[112:113], v[58:59], v[188:189], v[56:57]
	s_waitcnt vmcnt(0)
	v_mul_f64 v[56:57], v[62:63], v[186:187]
	v_fma_f64 v[114:115], v[60:61], v[184:185], -v[56:57]
	v_mul_f64 v[56:57], v[60:61], v[186:187]
	v_fma_f64 v[179:180], v[62:63], v[184:185], v[56:57]
	v_add_co_u32_e32 v56, vcc, s12, v181
	v_addc_co_u32_e32 v57, vcc, 0, v182, vcc
	v_add_co_u32_e32 v58, vcc, s11, v181
	v_addc_co_u32_e32 v59, vcc, 0, v182, vcc
	global_load_dwordx4 v[200:203], v[58:59], off offset:2144
	global_load_dwordx4 v[196:199], v[56:57], off offset:16
	s_waitcnt vmcnt(1) lgkmcnt(13)
	v_mul_f64 v[56:57], v[66:67], v[202:203]
	v_fma_f64 v[181:182], v[64:65], v[200:201], -v[56:57]
	v_mul_f64 v[56:57], v[64:65], v[202:203]
	v_fma_f64 v[192:193], v[66:67], v[200:201], v[56:57]
	s_waitcnt vmcnt(0) lgkmcnt(12)
	v_mul_f64 v[56:57], v[70:71], v[198:199]
	v_fma_f64 v[194:195], v[68:69], v[196:197], -v[56:57]
	v_mul_f64 v[56:57], v[68:69], v[198:199]
	v_fma_f64 v[204:205], v[70:71], v[196:197], v[56:57]
	v_lshlrev_b32_e32 v56, 5, v245
	v_add_co_u32_e32 v58, vcc, s10, v56
	v_addc_co_u32_e32 v59, vcc, 0, v178, vcc
	v_add_co_u32_e32 v56, vcc, s12, v58
	v_addc_co_u32_e32 v57, vcc, 0, v59, vcc
	;; [unrolled: 2-line block ×3, first 2 shown]
	global_load_dwordx4 v[212:215], v[58:59], off offset:2144
	global_load_dwordx4 v[208:211], v[56:57], off offset:16
	s_waitcnt vmcnt(1) lgkmcnt(10)
	v_mul_f64 v[56:57], v[76:77], v[214:215]
	v_fma_f64 v[72:73], v[74:75], v[212:213], -v[56:57]
	v_mul_f64 v[56:57], v[74:75], v[214:215]
	v_fma_f64 v[74:75], v[76:77], v[212:213], v[56:57]
	s_waitcnt vmcnt(0) lgkmcnt(9)
	v_mul_f64 v[56:57], v[90:91], v[210:211]
	v_fma_f64 v[76:77], v[88:89], v[208:209], -v[56:57]
	v_mul_f64 v[56:57], v[88:89], v[210:211]
	v_fma_f64 v[206:207], v[90:91], v[208:209], v[56:57]
	v_lshlrev_b32_e32 v56, 5, v177
	v_add_co_u32_e32 v58, vcc, s10, v56
	v_addc_co_u32_e32 v59, vcc, 0, v178, vcc
	v_add_co_u32_e32 v56, vcc, s12, v58
	v_addc_co_u32_e32 v57, vcc, 0, v59, vcc
	;; [unrolled: 2-line block ×3, first 2 shown]
	global_load_dwordx4 v[220:223], v[58:59], off offset:2144
	global_load_dwordx4 v[216:219], v[56:57], off offset:16
	s_waitcnt vmcnt(1) lgkmcnt(7)
	v_mul_f64 v[56:57], v[94:95], v[222:223]
	v_fma_f64 v[64:65], v[92:93], v[220:221], -v[56:57]
	v_mul_f64 v[56:57], v[92:93], v[222:223]
	v_fma_f64 v[66:67], v[94:95], v[220:221], v[56:57]
	s_waitcnt vmcnt(0) lgkmcnt(6)
	v_mul_f64 v[56:57], v[98:99], v[218:219]
	v_add_f64 v[94:95], v[181:182], -v[194:195]
	v_fma_f64 v[68:69], v[96:97], v[216:217], -v[56:57]
	v_mul_f64 v[56:57], v[96:97], v[218:219]
	v_fma_f64 v[70:71], v[98:99], v[216:217], v[56:57]
	v_lshlrev_b32_e32 v56, 5, v176
	v_add_co_u32_e32 v58, vcc, s10, v56
	v_addc_co_u32_e32 v59, vcc, 0, v178, vcc
	v_add_co_u32_e32 v56, vcc, s12, v58
	v_addc_co_u32_e32 v57, vcc, 0, v59, vcc
	;; [unrolled: 2-line block ×6, first 2 shown]
	global_load_dwordx4 v[228:231], v[58:59], off offset:2144
	global_load_dwordx4 v[224:227], v[56:57], off offset:16
	;; [unrolled: 1-line block ×4, first 2 shown]
	v_add_f64 v[90:91], v[192:193], -v[204:205]
	v_add_f64 v[98:99], v[74:75], -v[206:207]
	s_movk_i32 s10, 0x4a40
	s_waitcnt vmcnt(3) lgkmcnt(4)
	v_mul_f64 v[56:57], v[106:107], v[230:231]
	s_waitcnt vmcnt(1) lgkmcnt(1)
	v_mul_f64 v[88:89], v[54:55], v[238:239]
	v_mul_f64 v[58:59], v[104:105], v[230:231]
	v_mul_f64 v[60:61], v[110:111], v[226:227]
	v_mul_f64 v[62:63], v[108:109], v[226:227]
	v_fma_f64 v[56:57], v[104:105], v[228:229], -v[56:57]
	v_fma_f64 v[176:177], v[52:53], v[236:237], -v[88:89]
	v_mul_f64 v[52:53], v[52:53], v[238:239]
	v_fma_f64 v[58:59], v[106:107], v[228:229], v[58:59]
	v_fma_f64 v[60:61], v[108:109], v[224:225], -v[60:61]
	v_fma_f64 v[62:63], v[110:111], v[224:225], v[62:63]
	v_fma_f64 v[240:241], v[54:55], v[236:237], v[52:53]
	s_waitcnt vmcnt(0) lgkmcnt(0)
	v_mul_f64 v[52:53], v[50:51], v[234:235]
	v_add_f64 v[54:55], v[112:113], v[179:180]
	v_fma_f64 v[242:243], v[48:49], v[232:233], -v[52:53]
	v_mul_f64 v[48:49], v[48:49], v[234:235]
	v_add_f64 v[52:53], v[112:113], -v[179:180]
	v_fma_f64 v[54:55], v[54:55], -0.5, v[46:47]
	v_fma_f64 v[244:245], v[50:51], v[232:233], v[48:49]
	v_add_f64 v[50:51], v[84:85], v[114:115]
	v_add_f64 v[48:49], v[44:45], v[84:85]
	v_add_f64 v[84:85], v[84:85], -v[114:115]
	v_fma_f64 v[50:51], v[50:51], -0.5, v[44:45]
	v_add_f64 v[48:49], v[48:49], v[114:115]
	v_fma_f64 v[44:45], v[52:53], s[2:3], v[50:51]
	v_fma_f64 v[52:53], v[52:53], s[8:9], v[50:51]
	v_add_f64 v[50:51], v[46:47], v[112:113]
	v_fma_f64 v[46:47], v[84:85], s[8:9], v[54:55]
	v_fma_f64 v[54:55], v[84:85], s[2:3], v[54:55]
	v_add_f64 v[84:85], v[40:41], v[181:182]
	v_add_f64 v[50:51], v[50:51], v[179:180]
	;; [unrolled: 1-line block ×4, first 2 shown]
	v_fma_f64 v[84:85], v[84:85], -0.5, v[40:41]
	v_fma_f64 v[40:41], v[90:91], s[2:3], v[84:85]
	v_fma_f64 v[92:93], v[90:91], s[8:9], v[84:85]
	v_add_f64 v[84:85], v[42:43], v[192:193]
	v_add_f64 v[90:91], v[84:85], v[204:205]
	;; [unrolled: 1-line block ×3, first 2 shown]
	v_fma_f64 v[84:85], v[84:85], -0.5, v[42:43]
	v_fma_f64 v[42:43], v[94:95], s[8:9], v[84:85]
	v_fma_f64 v[94:95], v[94:95], s[2:3], v[84:85]
	v_add_f64 v[84:85], v[36:37], v[72:73]
	v_add_f64 v[96:97], v[84:85], v[76:77]
	;; [unrolled: 1-line block ×3, first 2 shown]
	v_add_f64 v[72:73], v[72:73], -v[76:77]
	v_add_f64 v[76:77], v[66:67], -v[70:71]
	v_fma_f64 v[84:85], v[84:85], -0.5, v[36:37]
	v_fma_f64 v[36:37], v[98:99], s[2:3], v[84:85]
	v_fma_f64 v[104:105], v[98:99], s[8:9], v[84:85]
	v_add_f64 v[84:85], v[38:39], v[74:75]
	v_add_f64 v[74:75], v[74:75], v[206:207]
	;; [unrolled: 1-line block ×3, first 2 shown]
	v_fma_f64 v[74:75], v[74:75], -0.5, v[38:39]
	v_fma_f64 v[38:39], v[72:73], s[8:9], v[74:75]
	v_fma_f64 v[106:107], v[72:73], s[2:3], v[74:75]
	v_add_f64 v[74:75], v[64:65], v[68:69]
	v_add_f64 v[72:73], v[32:33], v[64:65]
	v_add_f64 v[64:65], v[64:65], -v[68:69]
	v_fma_f64 v[74:75], v[74:75], -0.5, v[32:33]
	v_add_f64 v[72:73], v[72:73], v[68:69]
	v_add_f64 v[68:69], v[58:59], -v[62:63]
	v_fma_f64 v[32:33], v[76:77], s[2:3], v[74:75]
	v_fma_f64 v[108:109], v[76:77], s[8:9], v[74:75]
	v_add_f64 v[74:75], v[34:35], v[66:67]
	v_add_f64 v[66:67], v[66:67], v[70:71]
	v_add_f64 v[76:77], v[176:177], -v[242:243]
	v_add_f64 v[74:75], v[74:75], v[70:71]
	v_fma_f64 v[66:67], v[66:67], -0.5, v[34:35]
	v_fma_f64 v[34:35], v[64:65], s[8:9], v[66:67]
	v_fma_f64 v[110:111], v[64:65], s[2:3], v[66:67]
	v_add_f64 v[66:67], v[56:57], v[60:61]
	v_add_f64 v[64:65], v[28:29], v[56:57]
	v_add_f64 v[56:57], v[56:57], -v[60:61]
	v_fma_f64 v[66:67], v[66:67], -0.5, v[28:29]
	v_add_f64 v[64:65], v[64:65], v[60:61]
	v_add_f64 v[60:61], v[240:241], -v[244:245]
	v_fma_f64 v[28:29], v[68:69], s[2:3], v[66:67]
	v_fma_f64 v[68:69], v[68:69], s[8:9], v[66:67]
	v_add_f64 v[66:67], v[30:31], v[58:59]
	v_add_f64 v[58:59], v[58:59], v[62:63]
	;; [unrolled: 1-line block ×3, first 2 shown]
	v_fma_f64 v[58:59], v[58:59], -0.5, v[30:31]
	v_add_f64 v[62:63], v[240:241], v[244:245]
	v_fma_f64 v[30:31], v[56:57], s[8:9], v[58:59]
	v_fma_f64 v[70:71], v[56:57], s[2:3], v[58:59]
	v_add_f64 v[58:59], v[176:177], v[242:243]
	v_add_f64 v[56:57], v[24:25], v[176:177]
	v_fma_f64 v[62:63], v[62:63], -0.5, v[26:27]
	v_fma_f64 v[58:59], v[58:59], -0.5, v[24:25]
	v_add_f64 v[56:57], v[56:57], v[242:243]
	v_fma_f64 v[24:25], v[60:61], s[2:3], v[58:59]
	v_fma_f64 v[60:61], v[60:61], s[8:9], v[58:59]
	v_add_f64 v[58:59], v[26:27], v[240:241]
	v_fma_f64 v[26:27], v[76:77], s[8:9], v[62:63]
	v_fma_f64 v[62:63], v[76:77], s[2:3], v[62:63]
	v_add_f64 v[58:59], v[58:59], v[244:245]
	ds_write_b128 v87, v[48:51]
	ds_write_b128 v87, v[44:47] offset:6336
	ds_write_b128 v87, v[52:55] offset:12672
	;; [unrolled: 1-line block ×17, first 2 shown]
	v_add_co_u32_e32 v24, vcc, s10, v78
	v_addc_co_u32_e32 v25, vcc, 0, v79, vcc
	s_movk_i32 s10, 0x4000
	v_add_co_u32_e32 v30, vcc, s10, v78
	v_addc_co_u32_e32 v31, vcc, 0, v79, vcc
	s_waitcnt lgkmcnt(0)
	s_barrier
	global_load_dwordx4 v[30:33], v[30:31], off offset:2624
	ds_read_b128 v[26:29], v87
	s_movk_i32 s10, 0x6000
	s_waitcnt vmcnt(0) lgkmcnt(0)
	v_mul_f64 v[34:35], v[28:29], v[32:33]
	v_fma_f64 v[34:35], v[26:27], v[30:31], -v[34:35]
	v_mul_f64 v[26:27], v[26:27], v[32:33]
	v_fma_f64 v[36:37], v[28:29], v[30:31], v[26:27]
	global_load_dwordx4 v[30:33], v[24:25], off offset:3168
	ds_read_b128 v[26:29], v87 offset:3168
	ds_write_b128 v87, v[34:37]
	s_waitcnt vmcnt(0) lgkmcnt(1)
	v_mul_f64 v[34:35], v[28:29], v[32:33]
	v_fma_f64 v[34:35], v[26:27], v[30:31], -v[34:35]
	v_mul_f64 v[26:27], v[26:27], v[32:33]
	v_fma_f64 v[36:37], v[28:29], v[30:31], v[26:27]
	v_add_co_u32_e32 v26, vcc, s10, v78
	v_addc_co_u32_e32 v27, vcc, 0, v79, vcc
	ds_read_b128 v[28:31], v87 offset:6336
	s_movk_i32 s10, 0x7000
	ds_write_b128 v87, v[34:37] offset:3168
	global_load_dwordx4 v[32:35], v[26:27], off offset:768
	s_waitcnt vmcnt(0) lgkmcnt(1)
	v_mul_f64 v[36:37], v[30:31], v[34:35]
	v_fma_f64 v[36:37], v[28:29], v[32:33], -v[36:37]
	v_mul_f64 v[28:29], v[28:29], v[34:35]
	v_fma_f64 v[38:39], v[30:31], v[32:33], v[28:29]
	global_load_dwordx4 v[32:35], v[26:27], off offset:3936
	ds_read_b128 v[28:31], v87 offset:9504
	ds_write_b128 v87, v[36:39] offset:6336
	s_waitcnt vmcnt(0) lgkmcnt(1)
	v_mul_f64 v[36:37], v[30:31], v[34:35]
	v_fma_f64 v[36:37], v[28:29], v[32:33], -v[36:37]
	v_mul_f64 v[28:29], v[28:29], v[34:35]
	v_fma_f64 v[38:39], v[30:31], v[32:33], v[28:29]
	v_add_co_u32_e32 v28, vcc, s10, v78
	v_addc_co_u32_e32 v29, vcc, 0, v79, vcc
	ds_read_b128 v[30:33], v87 offset:12672
	s_mov_b32 s10, 0x8000
	v_add_co_u32_e32 v42, vcc, s10, v78
	ds_write_b128 v87, v[36:39] offset:9504
	global_load_dwordx4 v[34:37], v[28:29], off offset:3008
	v_addc_co_u32_e32 v43, vcc, 0, v79, vcc
	s_movk_i32 s10, 0x5000
	v_add_co_u32_e32 v44, vcc, s10, v78
	v_addc_co_u32_e32 v45, vcc, 0, v79, vcc
	s_mov_b32 s10, 0x9000
	s_waitcnt vmcnt(0) lgkmcnt(1)
	v_mul_f64 v[38:39], v[32:33], v[36:37]
	v_fma_f64 v[38:39], v[30:31], v[34:35], -v[38:39]
	v_mul_f64 v[30:31], v[30:31], v[36:37]
	v_fma_f64 v[40:41], v[32:33], v[34:35], v[30:31]
	global_load_dwordx4 v[34:37], v[42:43], off offset:2080
	ds_read_b128 v[30:33], v87 offset:15840
	ds_write_b128 v87, v[38:41] offset:12672
	s_waitcnt vmcnt(0) lgkmcnt(1)
	v_mul_f64 v[38:39], v[32:33], v[36:37]
	v_fma_f64 v[38:39], v[30:31], v[34:35], -v[38:39]
	v_mul_f64 v[30:31], v[30:31], v[36:37]
	v_fma_f64 v[40:41], v[32:33], v[34:35], v[30:31]
	global_load_dwordx4 v[34:37], v[24:25], off offset:1056
	ds_read_b128 v[30:33], v87 offset:1056
	ds_write_b128 v87, v[38:41] offset:15840
	;; [unrolled: 8-line block ×10, first 2 shown]
	s_waitcnt vmcnt(0) lgkmcnt(1)
	v_mul_f64 v[34:35], v[32:33], v[26:27]
	v_mul_f64 v[26:27], v[30:31], v[26:27]
	v_fma_f64 v[34:35], v[30:31], v[24:25], -v[34:35]
	global_load_dwordx4 v[28:31], v[28:29], off offset:1952
	v_fma_f64 v[36:37], v[32:33], v[24:25], v[26:27]
	ds_read_b128 v[24:27], v87 offset:11616
	ds_write_b128 v87, v[34:37] offset:8448
	s_waitcnt vmcnt(0) lgkmcnt(1)
	v_mul_f64 v[32:33], v[26:27], v[30:31]
	v_fma_f64 v[32:33], v[24:25], v[28:29], -v[32:33]
	v_mul_f64 v[24:25], v[24:25], v[30:31]
	v_fma_f64 v[34:35], v[26:27], v[28:29], v[24:25]
	global_load_dwordx4 v[28:31], v[42:43], off offset:1024
	ds_read_b128 v[24:27], v87 offset:14784
	ds_write_b128 v87, v[32:35] offset:11616
	s_waitcnt vmcnt(0) lgkmcnt(1)
	v_mul_f64 v[32:33], v[26:27], v[30:31]
	v_fma_f64 v[32:33], v[24:25], v[28:29], -v[32:33]
	v_mul_f64 v[24:25], v[24:25], v[30:31]
	v_fma_f64 v[34:35], v[26:27], v[28:29], v[24:25]
	v_add_co_u32_e32 v28, vcc, s10, v78
	v_addc_co_u32_e32 v29, vcc, 0, v79, vcc
	global_load_dwordx4 v[28:31], v[28:29], off offset:96
	ds_read_b128 v[24:27], v87 offset:17952
	ds_write_b128 v87, v[32:35] offset:14784
	s_waitcnt vmcnt(0) lgkmcnt(1)
	v_mul_f64 v[32:33], v[26:27], v[30:31]
	v_fma_f64 v[32:33], v[24:25], v[28:29], -v[32:33]
	v_mul_f64 v[24:25], v[24:25], v[30:31]
	v_fma_f64 v[34:35], v[26:27], v[28:29], v[24:25]
	ds_write_b128 v87, v[32:35] offset:17952
	s_waitcnt lgkmcnt(0)
	s_barrier
	ds_read_b128 v[24:27], v87
	ds_read_b128 v[52:55], v87 offset:3168
	ds_read_b128 v[56:59], v87 offset:6336
	;; [unrolled: 1-line block ×17, first 2 shown]
	s_waitcnt lgkmcnt(13)
	v_add_f64 v[108:109], v[56:57], v[64:65]
	v_add_f64 v[84:85], v[24:25], v[56:57]
	v_add_f64 v[56:57], v[56:57], -v[64:65]
	s_waitcnt lgkmcnt(0)
	s_barrier
	buffer_load_dword v0, off, s[48:51], 0 offset:396 ; 4-byte Folded Reload
	v_fma_f64 v[24:25], v[108:109], -0.5, v[24:25]
	v_add_f64 v[108:109], v[58:59], -v[66:67]
	v_add_f64 v[84:85], v[84:85], v[64:65]
	v_fma_f64 v[110:111], v[108:109], s[8:9], v[24:25]
	v_fma_f64 v[24:25], v[108:109], s[2:3], v[24:25]
	v_add_f64 v[108:109], v[26:27], v[58:59]
	v_add_f64 v[58:59], v[58:59], v[66:67]
	;; [unrolled: 1-line block ×3, first 2 shown]
	v_fma_f64 v[26:27], v[58:59], -0.5, v[26:27]
	v_fma_f64 v[114:115], v[56:57], s[2:3], v[26:27]
	v_fma_f64 v[26:27], v[56:57], s[8:9], v[26:27]
	v_add_f64 v[56:57], v[52:53], v[60:61]
	v_add_f64 v[64:65], v[56:57], v[68:69]
	;; [unrolled: 1-line block ×3, first 2 shown]
	v_fma_f64 v[52:53], v[56:57], -0.5, v[52:53]
	v_add_f64 v[56:57], v[62:63], -v[70:71]
	v_fma_f64 v[58:59], v[56:57], s[8:9], v[52:53]
	v_fma_f64 v[66:67], v[56:57], s[2:3], v[52:53]
	v_add_f64 v[52:53], v[54:55], v[62:63]
	v_add_f64 v[176:177], v[52:53], v[70:71]
	;; [unrolled: 1-line block ×3, first 2 shown]
	v_fma_f64 v[52:53], v[52:53], -0.5, v[54:55]
	v_add_f64 v[54:55], v[60:61], -v[68:69]
	v_fma_f64 v[62:63], v[54:55], s[2:3], v[52:53]
	v_fma_f64 v[68:69], v[54:55], s[8:9], v[52:53]
	v_add_f64 v[52:53], v[84:85], v[64:65]
	v_add_f64 v[64:65], v[84:85], -v[64:65]
	v_mul_f64 v[54:55], v[62:63], s[8:9]
	v_mul_f64 v[62:63], v[62:63], 0.5
	v_fma_f64 v[70:71], v[58:59], 0.5, v[54:55]
	v_fma_f64 v[178:179], v[58:59], s[2:3], v[62:63]
	v_mul_f64 v[62:63], v[68:69], -0.5
	v_mul_f64 v[54:55], v[68:69], s[8:9]
	v_add_f64 v[56:57], v[110:111], v[70:71]
	v_add_f64 v[68:69], v[110:111], -v[70:71]
	v_fma_f64 v[180:181], v[66:67], s[2:3], v[62:63]
	v_fma_f64 v[108:109], v[66:67], -0.5, v[54:55]
	v_add_f64 v[54:55], v[112:113], v[176:177]
	v_add_f64 v[66:67], v[112:113], -v[176:177]
	v_add_f64 v[58:59], v[114:115], v[178:179]
	v_add_f64 v[70:71], v[114:115], -v[178:179]
	;; [unrolled: 2-line block ×3, first 2 shown]
	v_add_f64 v[26:27], v[88:89], v[96:97]
	v_add_f64 v[60:61], v[24:25], v[108:109]
	v_add_f64 v[108:109], v[24:25], -v[108:109]
	v_add_f64 v[24:25], v[72:73], v[88:89]
	s_waitcnt vmcnt(0)
	ds_write_b128 v0, v[52:55]
	ds_write_b128 v0, v[56:59] offset:16
	ds_write_b128 v0, v[60:63] offset:32
	;; [unrolled: 1-line block ×5, first 2 shown]
	v_fma_f64 v[26:27], v[26:27], -0.5, v[72:73]
	v_add_f64 v[72:73], v[90:91], -v[98:99]
	buffer_load_dword v0, off, s[48:51], 0 offset:404 ; 4-byte Folded Reload
	v_add_f64 v[24:25], v[24:25], v[96:97]
	v_fma_f64 v[84:85], v[72:73], s[8:9], v[26:27]
	v_fma_f64 v[26:27], v[72:73], s[2:3], v[26:27]
	v_add_f64 v[72:73], v[74:75], v[90:91]
	v_add_f64 v[112:113], v[72:73], v[98:99]
	;; [unrolled: 1-line block ×3, first 2 shown]
	v_fma_f64 v[72:73], v[72:73], -0.5, v[74:75]
	v_add_f64 v[74:75], v[88:89], -v[96:97]
	v_fma_f64 v[98:99], v[74:75], s[2:3], v[72:73]
	v_fma_f64 v[114:115], v[74:75], s[8:9], v[72:73]
	v_add_f64 v[72:73], v[76:77], v[92:93]
	v_add_f64 v[74:75], v[94:95], -v[106:107]
	v_add_f64 v[96:97], v[72:73], v[104:105]
	v_add_f64 v[72:73], v[92:93], v[104:105]
	v_fma_f64 v[72:73], v[72:73], -0.5, v[76:77]
	v_fma_f64 v[90:91], v[74:75], s[8:9], v[72:73]
	v_fma_f64 v[176:177], v[74:75], s[2:3], v[72:73]
	v_add_f64 v[72:73], v[78:79], v[94:95]
	v_add_f64 v[74:75], v[92:93], -v[104:105]
	v_add_f64 v[178:179], v[72:73], v[106:107]
	v_add_f64 v[72:73], v[94:95], v[106:107]
	v_fma_f64 v[72:73], v[72:73], -0.5, v[78:79]
	v_fma_f64 v[78:79], v[74:75], s[2:3], v[72:73]
	v_fma_f64 v[92:93], v[74:75], s[8:9], v[72:73]
	v_add_f64 v[72:73], v[24:25], v[96:97]
	v_mul_f64 v[74:75], v[78:79], s[8:9]
	v_mul_f64 v[78:79], v[78:79], 0.5
	v_fma_f64 v[94:95], v[90:91], 0.5, v[74:75]
	v_mul_f64 v[74:75], v[92:93], s[8:9]
	v_fma_f64 v[106:107], v[90:91], s[2:3], v[78:79]
	v_mul_f64 v[90:91], v[92:93], -0.5
	v_add_f64 v[92:93], v[24:25], -v[96:97]
	v_add_f64 v[76:77], v[84:85], v[94:95]
	v_fma_f64 v[104:105], v[176:177], -0.5, v[74:75]
	v_add_f64 v[96:97], v[84:85], -v[94:95]
	v_add_f64 v[84:85], v[40:41], v[44:45]
	v_add_f64 v[78:79], v[98:99], v[106:107]
	v_add_f64 v[98:99], v[98:99], -v[106:107]
	v_add_f64 v[74:75], v[112:113], v[178:179]
	v_add_f64 v[94:95], v[112:113], -v[178:179]
	v_fma_f64 v[176:177], v[176:177], s[2:3], v[90:91]
	v_add_f64 v[88:89], v[26:27], v[104:105]
	v_add_f64 v[24:25], v[26:27], -v[104:105]
	v_add_f64 v[104:105], v[44:45], v[48:49]
	v_add_f64 v[84:85], v[84:85], v[48:49]
	;; [unrolled: 1-line block ×3, first 2 shown]
	v_add_f64 v[26:27], v[114:115], -v[176:177]
	v_fma_f64 v[40:41], v[104:105], -0.5, v[40:41]
	v_add_f64 v[104:105], v[46:47], -v[50:51]
	v_fma_f64 v[106:107], v[104:105], s[8:9], v[40:41]
	v_fma_f64 v[104:105], v[104:105], s[2:3], v[40:41]
	v_add_f64 v[40:41], v[42:43], v[46:47]
	v_add_f64 v[112:113], v[40:41], v[50:51]
	;; [unrolled: 1-line block ×3, first 2 shown]
	v_fma_f64 v[40:41], v[40:41], -0.5, v[42:43]
	v_add_f64 v[42:43], v[44:45], -v[48:49]
	v_fma_f64 v[46:47], v[42:43], s[2:3], v[40:41]
	v_fma_f64 v[50:51], v[42:43], s[8:9], v[40:41]
	v_add_f64 v[42:43], v[32:33], v[36:37]
	v_add_f64 v[40:41], v[28:29], v[32:33]
	v_fma_f64 v[28:29], v[42:43], -0.5, v[28:29]
	v_add_f64 v[42:43], v[34:35], -v[38:39]
	v_add_f64 v[40:41], v[40:41], v[36:37]
	v_fma_f64 v[44:45], v[42:43], s[8:9], v[28:29]
	v_fma_f64 v[42:43], v[42:43], s[2:3], v[28:29]
	v_add_f64 v[28:29], v[30:31], v[34:35]
	v_add_f64 v[114:115], v[28:29], v[38:39]
	v_add_f64 v[28:29], v[34:35], v[38:39]
	v_fma_f64 v[28:29], v[28:29], -0.5, v[30:31]
	v_add_f64 v[30:31], v[32:33], -v[36:37]
	v_fma_f64 v[34:35], v[30:31], s[2:3], v[28:29]
	v_fma_f64 v[38:39], v[30:31], s[8:9], v[28:29]
	v_add_f64 v[28:29], v[84:85], v[40:41]
	v_add_f64 v[40:41], v[84:85], -v[40:41]
	v_mul_f64 v[30:31], v[34:35], s[8:9]
	v_mul_f64 v[34:35], v[34:35], 0.5
	v_fma_f64 v[48:49], v[44:45], 0.5, v[30:31]
	v_mul_f64 v[30:31], v[38:39], s[8:9]
	v_mul_f64 v[38:39], v[38:39], -0.5
	v_fma_f64 v[178:179], v[44:45], s[2:3], v[34:35]
	v_add_f64 v[32:33], v[106:107], v[48:49]
	v_fma_f64 v[176:177], v[42:43], -0.5, v[30:31]
	v_fma_f64 v[180:181], v[42:43], s[2:3], v[38:39]
	v_add_f64 v[30:31], v[112:113], v[114:115]
	v_add_f64 v[34:35], v[46:47], v[178:179]
	v_add_f64 v[44:45], v[106:107], -v[48:49]
	v_add_f64 v[42:43], v[112:113], -v[114:115]
	;; [unrolled: 1-line block ×3, first 2 shown]
	v_add_f64 v[36:37], v[104:105], v[176:177]
	v_add_f64 v[38:39], v[50:51], v[180:181]
	v_add_f64 v[48:49], v[104:105], -v[176:177]
	v_add_f64 v[50:51], v[50:51], -v[180:181]
	s_waitcnt vmcnt(0)
	ds_write_b128 v0, v[72:75]
	ds_write_b128 v0, v[76:79] offset:16
	ds_write_b128 v0, v[88:91] offset:32
	;; [unrolled: 1-line block ×5, first 2 shown]
	ds_write_b128 v255, v[28:31]
	ds_write_b128 v255, v[32:35] offset:16
	ds_write_b128 v255, v[36:39] offset:32
	;; [unrolled: 1-line block ×5, first 2 shown]
	s_waitcnt lgkmcnt(0)
	s_barrier
	ds_read_b128 v[52:55], v87
	ds_read_b128 v[76:79], v87 offset:1728
	ds_read_b128 v[204:207], v87 offset:3456
	ds_read_b128 v[192:195], v87 offset:5184
	ds_read_b128 v[72:75], v87 offset:6912
	ds_read_b128 v[180:183], v87 offset:8640
	ds_read_b128 v[176:179], v87 offset:10368
	ds_read_b128 v[68:71], v87 offset:12096
	ds_read_b128 v[64:67], v87 offset:13824
	ds_read_b128 v[60:63], v87 offset:15552
	ds_read_b128 v[56:59], v87 offset:17280
	s_and_saveexec_b64 s[2:3], s[0:1]
	s_cbranch_execz .LBB0_7
; %bb.6:
	ds_read_b128 v[24:27], v87 offset:1056
	ds_read_b128 v[28:31], v87 offset:2784
	;; [unrolled: 1-line block ×8, first 2 shown]
	s_waitcnt lgkmcnt(0)
	buffer_store_dword v0, off, s[48:51], 0 offset:48 ; 4-byte Folded Spill
	s_nop 0
	buffer_store_dword v1, off, s[48:51], 0 offset:52 ; 4-byte Folded Spill
	buffer_store_dword v2, off, s[48:51], 0 offset:56 ; 4-byte Folded Spill
	buffer_store_dword v3, off, s[48:51], 0 offset:60 ; 4-byte Folded Spill
	ds_read_b128 v[0:3], v87 offset:14880
	s_waitcnt lgkmcnt(0)
	buffer_store_dword v0, off, s[48:51], 0 offset:32 ; 4-byte Folded Spill
	s_nop 0
	buffer_store_dword v1, off, s[48:51], 0 offset:36 ; 4-byte Folded Spill
	buffer_store_dword v2, off, s[48:51], 0 offset:40 ; 4-byte Folded Spill
	buffer_store_dword v3, off, s[48:51], 0 offset:44 ; 4-byte Folded Spill
	ds_read_b128 v[0:3], v87 offset:16608
	;; [unrolled: 7-line block ×3, first 2 shown]
	s_waitcnt lgkmcnt(0)
	buffer_store_dword v0, off, s[48:51], 0 ; 4-byte Folded Spill
	s_nop 0
	buffer_store_dword v1, off, s[48:51], 0 offset:4 ; 4-byte Folded Spill
	buffer_store_dword v2, off, s[48:51], 0 offset:8 ; 4-byte Folded Spill
	;; [unrolled: 1-line block ×3, first 2 shown]
.LBB0_7:
	s_or_b64 exec, exec, s[2:3]
	buffer_load_dword v0, off, s[48:51], 0 offset:456 ; 4-byte Folded Reload
	buffer_load_dword v1, off, s[48:51], 0 offset:460 ; 4-byte Folded Reload
	;; [unrolled: 1-line block ×4, first 2 shown]
	v_add_u32_e32 v241, 0x840, v81
	v_add_u32_e32 v240, 0xc60, v81
	;; [unrolled: 1-line block ×4, first 2 shown]
	s_mov_b32 s8, 0xf8bb580b
	s_mov_b32 s12, 0x8eee2c13
	;; [unrolled: 1-line block ×26, first 2 shown]
	s_waitcnt vmcnt(0) lgkmcnt(9)
	v_mul_f64 v[81:82], v[2:3], v[78:79]
	v_fma_f64 v[84:85], v[0:1], v[76:77], v[81:82]
	v_mul_f64 v[76:77], v[2:3], v[76:77]
	v_fma_f64 v[88:89], v[0:1], v[78:79], -v[76:77]
	buffer_load_dword v0, off, s[48:51], 0 offset:440 ; 4-byte Folded Reload
	buffer_load_dword v1, off, s[48:51], 0 offset:444 ; 4-byte Folded Reload
	buffer_load_dword v2, off, s[48:51], 0 offset:448 ; 4-byte Folded Reload
	buffer_load_dword v3, off, s[48:51], 0 offset:452 ; 4-byte Folded Reload
	s_waitcnt vmcnt(0) lgkmcnt(8)
	v_mul_f64 v[76:77], v[2:3], v[206:207]
	v_fma_f64 v[90:91], v[0:1], v[204:205], v[76:77]
	v_mul_f64 v[76:77], v[2:3], v[204:205]
	v_fma_f64 v[206:207], v[0:1], v[206:207], -v[76:77]
	buffer_load_dword v0, off, s[48:51], 0 offset:424 ; 4-byte Folded Reload
	buffer_load_dword v1, off, s[48:51], 0 offset:428 ; 4-byte Folded Reload
	buffer_load_dword v2, off, s[48:51], 0 offset:432 ; 4-byte Folded Reload
	buffer_load_dword v3, off, s[48:51], 0 offset:436 ; 4-byte Folded Reload
	s_waitcnt vmcnt(0) lgkmcnt(7)
	v_mul_f64 v[76:77], v[2:3], v[194:195]
	v_fma_f64 v[204:205], v[0:1], v[192:193], v[76:77]
	v_mul_f64 v[76:77], v[2:3], v[192:193]
	v_fma_f64 v[192:193], v[0:1], v[194:195], -v[76:77]
	buffer_load_dword v0, off, s[48:51], 0 offset:408 ; 4-byte Folded Reload
	buffer_load_dword v1, off, s[48:51], 0 offset:412 ; 4-byte Folded Reload
	buffer_load_dword v2, off, s[48:51], 0 offset:416 ; 4-byte Folded Reload
	buffer_load_dword v3, off, s[48:51], 0 offset:420 ; 4-byte Folded Reload
	s_waitcnt vmcnt(0) lgkmcnt(6)
	v_mul_f64 v[76:77], v[2:3], v[74:75]
	v_fma_f64 v[78:79], v[0:1], v[72:73], v[76:77]
	v_mul_f64 v[72:73], v[2:3], v[72:73]
	v_fma_f64 v[76:77], v[0:1], v[74:75], -v[72:73]
	buffer_load_dword v0, off, s[48:51], 0 offset:488 ; 4-byte Folded Reload
	buffer_load_dword v1, off, s[48:51], 0 offset:492 ; 4-byte Folded Reload
	buffer_load_dword v2, off, s[48:51], 0 offset:496 ; 4-byte Folded Reload
	buffer_load_dword v3, off, s[48:51], 0 offset:500 ; 4-byte Folded Reload
	s_waitcnt vmcnt(0) lgkmcnt(5)
	v_mul_f64 v[72:73], v[2:3], v[182:183]
	v_mul_f64 v[6:7], v[2:3], v[180:181]
	v_fma_f64 v[72:73], v[0:1], v[180:181], v[72:73]
	v_fma_f64 v[4:5], v[0:1], v[182:183], -v[6:7]
	buffer_load_dword v0, off, s[48:51], 0 offset:472 ; 4-byte Folded Reload
	buffer_load_dword v1, off, s[48:51], 0 offset:476 ; 4-byte Folded Reload
	;; [unrolled: 1-line block ×8, first 2 shown]
	s_waitcnt vmcnt(0) lgkmcnt(0)
	s_barrier
	v_mul_f64 v[6:7], v[2:3], v[178:179]
	v_mul_f64 v[2:3], v[2:3], v[176:177]
	v_fma_f64 v[74:75], v[0:1], v[176:177], v[6:7]
	v_fma_f64 v[6:7], v[0:1], v[178:179], -v[2:3]
	v_mul_f64 v[0:1], v[18:19], v[70:71]
	v_add_f64 v[2:3], v[54:55], v[88:89]
	v_fma_f64 v[81:82], v[16:17], v[68:69], v[0:1]
	v_mul_f64 v[0:1], v[18:19], v[68:69]
	v_add_f64 v[2:3], v[2:3], v[206:207]
	v_fma_f64 v[16:17], v[16:17], v[70:71], -v[0:1]
	v_mul_f64 v[0:1], v[10:11], v[66:67]
	v_add_f64 v[2:3], v[2:3], v[192:193]
	v_fma_f64 v[18:19], v[8:9], v[64:65], v[0:1]
	v_mul_f64 v[0:1], v[10:11], v[64:65]
	v_add_f64 v[2:3], v[2:3], v[76:77]
	;; [unrolled: 6-line block ×4, first 2 shown]
	v_add_f64 v[14:15], v[84:85], v[22:23]
	v_fma_f64 v[12:13], v[12:13], v[58:59], -v[0:1]
	v_add_f64 v[0:1], v[52:53], v[84:85]
	v_add_f64 v[2:3], v[2:3], v[20:21]
	v_add_f64 v[56:57], v[88:89], v[12:13]
	v_add_f64 v[0:1], v[0:1], v[90:91]
	v_add_f64 v[2:3], v[2:3], v[12:13]
	v_add_f64 v[12:13], v[88:89], -v[12:13]
	v_mul_f64 v[62:63], v[56:57], s[2:3]
	v_add_f64 v[0:1], v[0:1], v[204:205]
	v_mul_f64 v[70:71], v[56:57], s[10:11]
	v_mul_f64 v[58:59], v[12:13], s[8:9]
	;; [unrolled: 1-line block ×7, first 2 shown]
	v_add_f64 v[0:1], v[0:1], v[78:79]
	v_mul_f64 v[106:107], v[56:57], s[20:21]
	v_fma_f64 v[60:61], v[14:15], s[2:3], v[58:59]
	v_fma_f64 v[58:59], v[14:15], s[2:3], -v[58:59]
	v_fma_f64 v[68:69], v[14:15], s[10:11], v[66:67]
	v_fma_f64 v[66:67], v[14:15], s[10:11], -v[66:67]
	;; [unrolled: 2-line block ×3, first 2 shown]
	v_add_f64 v[0:1], v[0:1], v[72:73]
	v_fma_f64 v[104:105], v[14:15], s[20:21], v[98:99]
	v_fma_f64 v[98:99], v[14:15], s[20:21], -v[98:99]
	v_fma_f64 v[110:111], v[14:15], s[24:25], v[12:13]
	v_mul_f64 v[56:57], v[56:57], s[24:25]
	v_fma_f64 v[12:13], v[14:15], s[24:25], -v[12:13]
	v_add_f64 v[60:61], v[52:53], v[60:61]
	v_add_f64 v[58:59], v[52:53], v[58:59]
	;; [unrolled: 1-line block ×13, first 2 shown]
	v_add_f64 v[20:21], v[206:207], -v[20:21]
	v_add_f64 v[0:1], v[0:1], v[18:19]
	v_add_f64 v[0:1], v[0:1], v[10:11]
	;; [unrolled: 1-line block ×3, first 2 shown]
	v_add_f64 v[22:23], v[84:85], -v[22:23]
	v_fma_f64 v[64:65], v[22:23], s[26:27], v[62:63]
	v_fma_f64 v[62:63], v[22:23], s[8:9], v[62:63]
	;; [unrolled: 1-line block ×10, first 2 shown]
	v_add_f64 v[64:65], v[54:55], v[64:65]
	v_add_f64 v[62:63], v[54:55], v[62:63]
	;; [unrolled: 1-line block ×11, first 2 shown]
	v_mul_f64 v[54:55], v[20:21], s[12:13]
	v_add_f64 v[10:11], v[90:91], -v[10:11]
	v_fma_f64 v[56:57], v[22:23], s[10:11], v[54:55]
	v_fma_f64 v[54:55], v[22:23], s[10:11], -v[54:55]
	v_add_f64 v[56:57], v[56:57], v[60:61]
	v_mul_f64 v[60:61], v[52:53], s[10:11]
	v_add_f64 v[54:55], v[54:55], v[58:59]
	v_fma_f64 v[90:91], v[10:11], s[36:37], v[60:61]
	v_fma_f64 v[58:59], v[10:11], s[12:13], v[60:61]
	v_mul_f64 v[60:61], v[20:21], s[22:23]
	v_add_f64 v[64:65], v[90:91], v[64:65]
	v_add_f64 v[58:59], v[58:59], v[62:63]
	v_fma_f64 v[62:63], v[22:23], s[20:21], v[60:61]
	v_fma_f64 v[60:61], v[22:23], s[20:21], -v[60:61]
	v_add_f64 v[62:63], v[62:63], v[68:69]
	v_mul_f64 v[68:69], v[52:53], s[20:21]
	v_add_f64 v[60:61], v[60:61], v[66:67]
	v_fma_f64 v[90:91], v[10:11], s[38:39], v[68:69]
	v_fma_f64 v[66:67], v[10:11], s[22:23], v[68:69]
	v_mul_f64 v[68:69], v[20:21], s[34:35]
	v_add_f64 v[84:85], v[90:91], v[84:85]
	v_add_f64 v[66:67], v[66:67], v[70:71]
	v_fma_f64 v[70:71], v[22:23], s[24:25], v[68:69]
	v_mul_f64 v[90:91], v[52:53], s[24:25]
	v_fma_f64 v[68:69], v[22:23], s[24:25], -v[68:69]
	v_add_f64 v[70:71], v[70:71], v[92:93]
	v_fma_f64 v[92:93], v[10:11], s[28:29], v[90:91]
	v_add_f64 v[68:69], v[68:69], v[88:89]
	v_fma_f64 v[88:89], v[10:11], s[34:35], v[90:91]
	v_mul_f64 v[90:91], v[20:21], s[30:31]
	v_mul_f64 v[20:21], v[20:21], s[26:27]
	v_add_f64 v[92:93], v[92:93], v[96:97]
	v_mul_f64 v[96:97], v[52:53], s[16:17]
	v_add_f64 v[88:89], v[88:89], v[94:95]
	v_fma_f64 v[94:95], v[22:23], s[16:17], v[90:91]
	v_fma_f64 v[90:91], v[22:23], s[16:17], -v[90:91]
	v_mul_f64 v[52:53], v[52:53], s[2:3]
	v_add_f64 v[94:95], v[94:95], v[104:105]
	v_fma_f64 v[104:105], v[10:11], s[18:19], v[96:97]
	v_add_f64 v[90:91], v[90:91], v[98:99]
	v_fma_f64 v[96:97], v[10:11], s[30:31], v[96:97]
	v_fma_f64 v[98:99], v[22:23], s[2:3], v[20:21]
	v_fma_f64 v[20:21], v[22:23], s[2:3], -v[20:21]
	v_add_f64 v[104:105], v[104:105], v[108:109]
	v_add_f64 v[96:97], v[96:97], v[106:107]
	v_fma_f64 v[106:107], v[10:11], s[8:9], v[52:53]
	v_add_f64 v[12:13], v[20:21], v[12:13]
	v_fma_f64 v[10:11], v[10:11], s[26:27], v[52:53]
	v_add_f64 v[20:21], v[192:193], v[8:9]
	v_add_f64 v[8:9], v[192:193], -v[8:9]
	v_add_f64 v[98:99], v[98:99], v[110:111]
	v_add_f64 v[106:107], v[106:107], v[112:113]
	;; [unrolled: 1-line block ×4, first 2 shown]
	v_mul_f64 v[22:23], v[8:9], s[18:19]
	v_add_f64 v[18:19], v[204:205], -v[18:19]
	v_fma_f64 v[52:53], v[14:15], s[16:17], v[22:23]
	v_fma_f64 v[22:23], v[14:15], s[16:17], -v[22:23]
	v_add_f64 v[52:53], v[52:53], v[56:57]
	v_mul_f64 v[56:57], v[20:21], s[16:17]
	v_add_f64 v[22:23], v[22:23], v[54:55]
	v_fma_f64 v[108:109], v[18:19], s[30:31], v[56:57]
	v_fma_f64 v[54:55], v[18:19], s[18:19], v[56:57]
	v_mul_f64 v[56:57], v[8:9], s[34:35]
	v_add_f64 v[64:65], v[108:109], v[64:65]
	v_add_f64 v[54:55], v[54:55], v[58:59]
	v_fma_f64 v[58:59], v[14:15], s[24:25], v[56:57]
	v_fma_f64 v[56:57], v[14:15], s[24:25], -v[56:57]
	v_add_f64 v[58:59], v[58:59], v[62:63]
	v_mul_f64 v[62:63], v[20:21], s[24:25]
	v_add_f64 v[56:57], v[56:57], v[60:61]
	v_fma_f64 v[108:109], v[18:19], s[28:29], v[62:63]
	v_fma_f64 v[60:61], v[18:19], s[34:35], v[62:63]
	v_mul_f64 v[62:63], v[8:9], s[36:37]
	v_add_f64 v[84:85], v[108:109], v[84:85]
	v_add_f64 v[60:61], v[60:61], v[66:67]
	v_fma_f64 v[66:67], v[14:15], s[10:11], v[62:63]
	v_fma_f64 v[62:63], v[14:15], s[10:11], -v[62:63]
	v_add_f64 v[66:67], v[66:67], v[70:71]
	v_mul_f64 v[70:71], v[20:21], s[10:11]
	v_add_f64 v[62:63], v[62:63], v[68:69]
	v_fma_f64 v[108:109], v[18:19], s[12:13], v[70:71]
	v_fma_f64 v[68:69], v[18:19], s[36:37], v[70:71]
	v_mul_f64 v[70:71], v[8:9], s[8:9]
	v_mul_f64 v[8:9], v[8:9], s[22:23]
	v_add_f64 v[92:93], v[108:109], v[92:93]
	v_add_f64 v[68:69], v[68:69], v[88:89]
	v_fma_f64 v[88:89], v[14:15], s[2:3], v[70:71]
	v_fma_f64 v[70:71], v[14:15], s[2:3], -v[70:71]
	v_add_f64 v[88:89], v[88:89], v[94:95]
	v_mul_f64 v[94:95], v[20:21], s[2:3]
	v_add_f64 v[70:71], v[70:71], v[90:91]
	v_mul_f64 v[20:21], v[20:21], s[20:21]
	v_fma_f64 v[108:109], v[18:19], s[26:27], v[94:95]
	v_fma_f64 v[90:91], v[18:19], s[8:9], v[94:95]
	;; [unrolled: 1-line block ×3, first 2 shown]
	v_fma_f64 v[8:9], v[14:15], s[20:21], -v[8:9]
	v_add_f64 v[14:15], v[76:77], v[16:17]
	v_add_f64 v[16:17], v[76:77], -v[16:17]
	v_add_f64 v[104:105], v[108:109], v[104:105]
	v_add_f64 v[90:91], v[90:91], v[96:97]
	v_fma_f64 v[96:97], v[18:19], s[38:39], v[20:21]
	v_add_f64 v[8:9], v[8:9], v[12:13]
	v_fma_f64 v[12:13], v[18:19], s[22:23], v[20:21]
	v_mul_f64 v[20:21], v[16:17], s[22:23]
	v_add_f64 v[18:19], v[78:79], -v[81:82]
	v_add_f64 v[94:95], v[94:95], v[98:99]
	v_add_f64 v[98:99], v[4:5], v[6:7]
	;; [unrolled: 1-line block ×5, first 2 shown]
	v_fma_f64 v[76:77], v[12:13], s[20:21], v[20:21]
	v_fma_f64 v[20:21], v[12:13], s[20:21], -v[20:21]
	v_add_f64 v[52:53], v[76:77], v[52:53]
	v_mul_f64 v[76:77], v[14:15], s[20:21]
	v_add_f64 v[20:21], v[20:21], v[22:23]
	v_fma_f64 v[22:23], v[18:19], s[22:23], v[76:77]
	v_fma_f64 v[78:79], v[18:19], s[38:39], v[76:77]
	v_add_f64 v[22:23], v[22:23], v[54:55]
	v_mul_f64 v[54:55], v[16:17], s[30:31]
	v_add_f64 v[64:65], v[78:79], v[64:65]
	v_fma_f64 v[76:77], v[12:13], s[16:17], v[54:55]
	v_fma_f64 v[54:55], v[12:13], s[16:17], -v[54:55]
	v_add_f64 v[58:59], v[76:77], v[58:59]
	v_mul_f64 v[76:77], v[14:15], s[16:17]
	v_add_f64 v[54:55], v[54:55], v[56:57]
	v_fma_f64 v[56:57], v[18:19], s[30:31], v[76:77]
	v_fma_f64 v[78:79], v[18:19], s[18:19], v[76:77]
	v_add_f64 v[56:57], v[56:57], v[60:61]
	v_mul_f64 v[60:61], v[16:17], s[8:9]
	v_add_f64 v[78:79], v[78:79], v[84:85]
	v_mul_f64 v[84:85], v[14:15], s[24:25]
	v_fma_f64 v[76:77], v[12:13], s[2:3], v[60:61]
	v_fma_f64 v[60:61], v[12:13], s[2:3], -v[60:61]
	v_add_f64 v[66:67], v[76:77], v[66:67]
	v_mul_f64 v[76:77], v[14:15], s[2:3]
	v_add_f64 v[60:61], v[60:61], v[62:63]
	v_mul_f64 v[14:15], v[14:15], s[10:11]
	v_fma_f64 v[62:63], v[18:19], s[8:9], v[76:77]
	v_fma_f64 v[81:82], v[18:19], s[26:27], v[76:77]
	v_add_f64 v[62:63], v[62:63], v[68:69]
	v_mul_f64 v[68:69], v[16:17], s[28:29]
	v_mul_f64 v[16:17], v[16:17], s[36:37]
	v_add_f64 v[81:82], v[81:82], v[92:93]
	v_fma_f64 v[76:77], v[12:13], s[24:25], v[68:69]
	v_fma_f64 v[68:69], v[12:13], s[24:25], -v[68:69]
	v_add_f64 v[76:77], v[76:77], v[88:89]
	v_add_f64 v[68:69], v[68:69], v[70:71]
	v_fma_f64 v[70:71], v[18:19], s[28:29], v[84:85]
	v_fma_f64 v[88:89], v[18:19], s[34:35], v[84:85]
	;; [unrolled: 1-line block ×3, first 2 shown]
	v_fma_f64 v[12:13], v[12:13], s[10:11], -v[16:17]
	v_add_f64 v[70:71], v[70:71], v[90:91]
	v_fma_f64 v[90:91], v[18:19], s[12:13], v[14:15]
	v_add_f64 v[84:85], v[84:85], v[94:95]
	v_add_f64 v[92:93], v[12:13], v[8:9]
	v_fma_f64 v[8:9], v[18:19], s[36:37], v[14:15]
	v_mul_f64 v[18:19], v[98:99], s[2:3]
	v_add_f64 v[88:89], v[88:89], v[104:105]
	v_add_f64 v[90:91], v[90:91], v[96:97]
	;; [unrolled: 1-line block ×3, first 2 shown]
	v_add_f64 v[72:73], v[72:73], -v[74:75]
	v_add_f64 v[74:75], v[4:5], -v[6:7]
	v_add_f64 v[94:95], v[8:9], v[10:11]
	v_mul_f64 v[10:11], v[98:99], s[24:25]
	v_fma_f64 v[14:15], v[72:73], s[8:9], v[18:19]
	v_mul_f64 v[8:9], v[74:75], s[28:29]
	v_mul_f64 v[16:17], v[74:75], s[26:27]
	v_fma_f64 v[6:7], v[72:73], s[34:35], v[10:11]
	v_fma_f64 v[10:11], v[72:73], s[28:29], v[10:11]
	;; [unrolled: 1-line block ×3, first 2 shown]
	v_add_f64 v[14:15], v[14:15], v[78:79]
	v_fma_f64 v[4:5], v[96:97], s[24:25], v[8:9]
	v_fma_f64 v[12:13], v[96:97], s[2:3], v[16:17]
	v_fma_f64 v[16:17], v[96:97], s[2:3], -v[16:17]
	v_fma_f64 v[8:9], v[96:97], s[24:25], -v[8:9]
	v_add_f64 v[10:11], v[10:11], v[22:23]
	v_add_f64 v[18:19], v[18:19], v[56:57]
	;; [unrolled: 1-line block ×4, first 2 shown]
	v_mul_f64 v[52:53], v[74:75], s[22:23]
	v_add_f64 v[16:17], v[16:17], v[54:55]
	v_mul_f64 v[54:55], v[98:99], s[20:21]
	v_add_f64 v[8:9], v[8:9], v[20:21]
	v_add_f64 v[12:13], v[12:13], v[58:59]
	v_fma_f64 v[20:21], v[96:97], s[20:21], v[52:53]
	v_fma_f64 v[52:53], v[96:97], s[20:21], -v[52:53]
	v_fma_f64 v[22:23], v[72:73], s[38:39], v[54:55]
	v_fma_f64 v[54:55], v[72:73], s[22:23], v[54:55]
	v_add_f64 v[20:21], v[20:21], v[66:67]
	v_add_f64 v[52:53], v[52:53], v[60:61]
	v_mul_f64 v[60:61], v[74:75], s[36:37]
	v_add_f64 v[54:55], v[54:55], v[62:63]
	v_mul_f64 v[62:63], v[98:99], s[10:11]
	v_add_f64 v[22:23], v[22:23], v[81:82]
	v_fma_f64 v[56:57], v[96:97], s[10:11], v[60:61]
	v_fma_f64 v[60:61], v[96:97], s[10:11], -v[60:61]
	v_fma_f64 v[58:59], v[72:73], s[12:13], v[62:63]
	v_fma_f64 v[62:63], v[72:73], s[36:37], v[62:63]
	v_add_f64 v[56:57], v[56:57], v[76:77]
	v_add_f64 v[60:61], v[60:61], v[68:69]
	v_mul_f64 v[68:69], v[74:75], s[18:19]
	v_add_f64 v[62:63], v[62:63], v[70:71]
	v_mul_f64 v[70:71], v[98:99], s[16:17]
	v_add_f64 v[58:59], v[58:59], v[88:89]
	v_fma_f64 v[64:65], v[96:97], s[16:17], v[68:69]
	v_fma_f64 v[68:69], v[96:97], s[16:17], -v[68:69]
	v_fma_f64 v[66:67], v[72:73], s[30:31], v[70:71]
	v_fma_f64 v[70:71], v[72:73], s[18:19], v[70:71]
	v_add_f64 v[64:65], v[64:65], v[84:85]
	v_add_f64 v[68:69], v[68:69], v[92:93]
	;; [unrolled: 1-line block ×4, first 2 shown]
	ds_write_b128 v83, v[0:3]
	ds_write_b128 v83, v[4:7] offset:96
	ds_write_b128 v83, v[12:15] offset:192
	;; [unrolled: 1-line block ×10, first 2 shown]
	s_and_saveexec_b64 s[38:39], s[0:1]
	s_cbranch_execz .LBB0_9
; %bb.8:
	buffer_load_dword v10, off, s[48:51], 0 offset:632 ; 4-byte Folded Reload
	buffer_load_dword v11, off, s[48:51], 0 offset:636 ; 4-byte Folded Reload
	;; [unrolled: 1-line block ×8, first 2 shown]
	s_waitcnt vmcnt(4)
	v_mul_f64 v[0:1], v[12:13], v[46:47]
	v_fma_f64 v[2:3], v[10:11], v[44:45], v[0:1]
	s_waitcnt vmcnt(0)
	v_mul_f64 v[0:1], v[8:9], v[50:51]
	v_mov_b32_e32 v97, v3
	v_fma_f64 v[0:1], v[6:7], v[48:49], v[0:1]
	v_mov_b32_e32 v96, v2
	v_mov_b32_e32 v95, v1
	v_add_f64 v[76:77], v[2:3], -v[0:1]
	v_mov_b32_e32 v94, v0
	v_mul_f64 v[0:1], v[12:13], v[44:45]
	buffer_store_dword v94, off, s[48:51], 0 offset:396 ; 4-byte Folded Spill
	s_nop 0
	buffer_store_dword v95, off, s[48:51], 0 offset:400 ; 4-byte Folded Spill
	v_mul_f64 v[4:5], v[76:77], s[18:19]
	v_fma_f64 v[56:57], v[10:11], v[46:47], -v[0:1]
	v_mul_f64 v[0:1], v[8:9], v[48:49]
	buffer_load_dword v8, off, s[48:51], 0 offset:552 ; 4-byte Folded Reload
	buffer_load_dword v9, off, s[48:51], 0 offset:556 ; 4-byte Folded Reload
	;; [unrolled: 1-line block ×12, first 2 shown]
	v_fma_f64 v[48:49], v[6:7], v[50:51], -v[0:1]
	v_add_f64 v[68:69], v[56:57], v[48:49]
	v_add_f64 v[106:107], v[56:57], -v[48:49]
	v_fma_f64 v[0:1], v[68:69], s[16:17], v[4:5]
	v_fma_f64 v[4:5], v[68:69], s[16:17], -v[4:5]
	s_waitcnt vmcnt(8)
	v_mul_f64 v[2:3], v[10:11], v[42:43]
	v_fma_f64 v[54:55], v[8:9], v[40:41], v[2:3]
	s_waitcnt vmcnt(0)
	v_mul_f64 v[2:3], v[14:15], v[18:19]
	v_fma_f64 v[52:53], v[12:13], v[16:17], v[2:3]
	v_mul_f64 v[2:3], v[10:11], v[40:41]
	v_add_f64 v[108:109], v[54:55], -v[52:53]
	v_fma_f64 v[50:51], v[8:9], v[42:43], -v[2:3]
	v_mul_f64 v[2:3], v[14:15], v[16:17]
	v_mul_f64 v[6:7], v[108:109], s[36:37]
	v_fma_f64 v[58:59], v[12:13], v[18:19], -v[2:3]
	buffer_load_dword v12, off, s[48:51], 0 offset:536 ; 4-byte Folded Reload
	buffer_load_dword v13, off, s[48:51], 0 offset:540 ; 4-byte Folded Reload
	;; [unrolled: 1-line block ×16, first 2 shown]
	v_add_f64 v[70:71], v[50:51], v[58:59]
	v_add_f64 v[110:111], v[50:51], -v[58:59]
	v_fma_f64 v[2:3], v[70:71], s[10:11], v[6:7]
	v_fma_f64 v[6:7], v[70:71], s[10:11], -v[6:7]
	s_waitcnt vmcnt(12)
	v_mul_f64 v[8:9], v[14:15], v[38:39]
	v_mul_f64 v[10:11], v[14:15], v[36:37]
	s_waitcnt vmcnt(0)
	v_mul_f64 v[14:15], v[66:67], v[32:33]
	v_fma_f64 v[42:43], v[12:13], v[36:37], v[8:9]
	v_mul_f64 v[8:9], v[18:19], v[22:23]
	v_fma_f64 v[62:63], v[12:13], v[38:39], -v[10:11]
	v_mul_f64 v[10:11], v[18:19], v[20:21]
	v_mul_f64 v[12:13], v[66:67], v[34:35]
	v_fma_f64 v[40:41], v[16:17], v[20:21], v[8:9]
	v_fma_f64 v[60:61], v[16:17], v[22:23], -v[10:11]
	buffer_load_dword v16, off, s[48:51], 0 offset:600 ; 4-byte Folded Reload
	buffer_load_dword v17, off, s[48:51], 0 offset:604 ; 4-byte Folded Reload
	;; [unrolled: 1-line block ×8, first 2 shown]
	v_fma_f64 v[38:39], v[64:65], v[32:33], v[12:13]
	v_fma_f64 v[64:65], v[64:65], v[34:35], -v[14:15]
	buffer_load_dword v72, off, s[48:51], 0 offset:648 ; 4-byte Folded Reload
	buffer_load_dword v73, off, s[48:51], 0 offset:652 ; 4-byte Folded Reload
	;; [unrolled: 1-line block ×4, first 2 shown]
	v_add_f64 v[88:89], v[42:43], -v[40:41]
	v_add_f64 v[78:79], v[62:63], v[60:61]
	v_add_f64 v[112:113], v[62:63], -v[60:61]
	v_mul_f64 v[8:9], v[88:89], s[22:23]
	v_fma_f64 v[10:11], v[78:79], s[20:21], v[8:9]
	v_fma_f64 v[8:9], v[78:79], s[20:21], -v[8:9]
	s_waitcnt vmcnt(4)
	v_mul_f64 v[12:13], v[18:19], v[22:23]
	v_mul_f64 v[14:15], v[18:19], v[20:21]
	s_waitcnt vmcnt(0)
	v_mul_f64 v[18:19], v[74:75], v[28:29]
	v_fma_f64 v[36:37], v[16:17], v[20:21], v[12:13]
	v_fma_f64 v[34:35], v[16:17], v[22:23], -v[14:15]
	buffer_load_dword v20, off, s[48:51], 0 offset:520 ; 4-byte Folded Reload
	buffer_load_dword v21, off, s[48:51], 0 offset:524 ; 4-byte Folded Reload
	buffer_load_dword v22, off, s[48:51], 0 offset:528 ; 4-byte Folded Reload
	buffer_load_dword v23, off, s[48:51], 0 offset:532 ; 4-byte Folded Reload
	buffer_load_dword v90, off, s[48:51], 0 ; 4-byte Folded Reload
	buffer_load_dword v91, off, s[48:51], 0 offset:4 ; 4-byte Folded Reload
	buffer_load_dword v92, off, s[48:51], 0 offset:8 ; 4-byte Folded Reload
	;; [unrolled: 1-line block ×3, first 2 shown]
	v_mul_f64 v[16:17], v[74:75], v[30:31]
	buffer_store_dword v114, off, s[48:51], 0 ; 4-byte Folded Spill
	v_add_f64 v[83:84], v[38:39], -v[36:37]
	v_add_f64 v[81:82], v[64:65], v[34:35]
	v_add_f64 v[114:115], v[64:65], -v[34:35]
	v_fma_f64 v[66:67], v[72:73], v[28:29], v[16:17]
	v_fma_f64 v[72:73], v[72:73], v[30:31], -v[18:19]
	v_add_f64 v[98:99], v[38:39], v[36:37]
	v_mul_f64 v[12:13], v[83:84], s[26:27]
	v_mul_f64 v[28:29], v[114:115], s[26:27]
	;; [unrolled: 1-line block ×6, first 2 shown]
	v_fma_f64 v[14:15], v[81:82], s[2:3], v[12:13]
	v_fma_f64 v[12:13], v[81:82], s[2:3], -v[12:13]
	v_fma_f64 v[30:31], v[98:99], s[2:3], -v[28:29]
	v_fma_f64 v[192:193], v[98:99], s[16:17], -v[182:183]
	v_fma_f64 v[248:249], v[98:99], s[20:21], -v[246:247]
	s_waitcnt vmcnt(1)
	v_mul_f64 v[16:17], v[22:23], v[92:93]
	v_mul_f64 v[18:19], v[22:23], v[90:91]
	v_fma_f64 v[32:33], v[20:21], v[90:91], v[16:17]
	v_fma_f64 v[74:75], v[20:21], v[92:93], -v[18:19]
	v_add_f64 v[92:93], v[96:97], v[94:95]
	v_add_f64 v[94:95], v[54:55], v[52:53]
	v_mul_f64 v[20:21], v[112:113], s[22:23]
	v_add_f64 v[85:86], v[66:67], -v[32:33]
	v_add_f64 v[90:91], v[72:73], v[74:75]
	v_add_f64 v[176:177], v[72:73], -v[74:75]
	v_add_f64 v[104:105], v[66:67], v[32:33]
	v_mul_f64 v[16:17], v[85:86], s[28:29]
	v_mul_f64 v[178:179], v[176:177], s[28:29]
	;; [unrolled: 1-line block ×6, first 2 shown]
	v_fma_f64 v[18:19], v[90:91], s[24:25], v[16:17]
	v_fma_f64 v[16:17], v[90:91], s[24:25], -v[16:17]
	v_fma_f64 v[180:181], v[104:105], s[24:25], -v[178:179]
	;; [unrolled: 1-line block ×5, first 2 shown]
	v_add_f64 v[18:19], v[26:27], v[18:19]
	v_add_f64 v[16:17], v[26:27], v[16:17]
	;; [unrolled: 1-line block ×9, first 2 shown]
	v_mul_f64 v[16:17], v[88:89], s[8:9]
	v_add_f64 v[192:193], v[192:193], v[204:205]
	v_add_f64 v[248:249], v[248:249], v[252:253]
	v_add_f64 v[10:11], v[10:11], v[14:15]
	v_mul_f64 v[14:15], v[110:111], s[36:37]
	v_add_f64 v[8:9], v[8:9], v[12:13]
	v_fma_f64 v[12:13], v[98:99], s[2:3], v[28:29]
	v_mul_f64 v[28:29], v[85:86], s[22:23]
	v_add_f64 v[2:3], v[2:3], v[10:11]
	v_mul_f64 v[10:11], v[106:107], s[18:19]
	v_fma_f64 v[18:19], v[94:95], s[10:11], -v[14:15]
	v_add_f64 v[6:7], v[6:7], v[8:9]
	v_fma_f64 v[8:9], v[94:95], s[10:11], v[14:15]
	v_fma_f64 v[14:15], v[104:105], s[24:25], v[178:179]
	v_mul_f64 v[178:179], v[112:113], s[8:9]
	v_add_f64 v[46:47], v[0:1], v[2:3]
	v_mov_b32_e32 v2, v96
	v_mov_b32_e32 v3, v97
	v_add_f64 v[96:97], v[42:43], v[40:41]
	v_fma_f64 v[0:1], v[92:93], s[16:17], -v[10:11]
	v_add_f64 v[6:7], v[4:5], v[6:7]
	v_fma_f64 v[4:5], v[92:93], s[16:17], v[10:11]
	v_add_f64 v[14:15], v[24:25], v[14:15]
	v_fma_f64 v[22:23], v[96:97], s[20:21], -v[20:21]
	v_fma_f64 v[10:11], v[96:97], s[20:21], v[20:21]
	v_mul_f64 v[20:21], v[83:84], s[30:31]
	v_fma_f64 v[180:181], v[96:97], s[2:3], -v[178:179]
	v_add_f64 v[12:13], v[12:13], v[14:15]
	v_mul_f64 v[14:15], v[108:109], s[28:29]
	v_add_f64 v[22:23], v[22:23], v[30:31]
	v_fma_f64 v[30:31], v[90:91], s[20:21], v[28:29]
	v_fma_f64 v[28:29], v[90:91], s[20:21], -v[28:29]
	v_add_f64 v[180:181], v[180:181], v[192:193]
	v_add_f64 v[10:11], v[10:11], v[12:13]
	v_mul_f64 v[12:13], v[76:77], s[36:37]
	v_add_f64 v[18:19], v[18:19], v[22:23]
	v_fma_f64 v[22:23], v[81:82], s[16:17], v[20:21]
	v_add_f64 v[30:31], v[26:27], v[30:31]
	v_fma_f64 v[20:21], v[81:82], s[16:17], -v[20:21]
	v_add_f64 v[28:29], v[26:27], v[28:29]
	v_add_f64 v[8:9], v[8:9], v[10:11]
	v_fma_f64 v[10:11], v[70:71], s[24:25], v[14:15]
	v_fma_f64 v[14:15], v[70:71], s[24:25], -v[14:15]
	v_add_f64 v[44:45], v[0:1], v[18:19]
	v_fma_f64 v[18:19], v[78:79], s[2:3], v[16:17]
	v_add_f64 v[22:23], v[22:23], v[30:31]
	v_fma_f64 v[16:17], v[78:79], s[2:3], -v[16:17]
	v_add_f64 v[20:21], v[20:21], v[28:29]
	v_add_f64 v[4:5], v[4:5], v[8:9]
	v_fma_f64 v[8:9], v[68:69], s[10:11], v[12:13]
	v_fma_f64 v[12:13], v[68:69], s[10:11], -v[12:13]
	v_mul_f64 v[28:29], v[88:89], s[36:37]
	v_mov_b32_e32 v0, v240
	v_add_f64 v[18:19], v[18:19], v[22:23]
	v_mul_f64 v[22:23], v[110:111], s[28:29]
	v_add_f64 v[16:17], v[16:17], v[20:21]
	v_fma_f64 v[20:21], v[98:99], s[16:17], v[182:183]
	v_mul_f64 v[182:183], v[85:86], s[18:19]
	v_mov_b32_e32 v1, v241
	v_fma_f64 v[240:241], v[98:99], s[24:25], -v[206:207]
	v_add_f64 v[10:11], v[10:11], v[18:19]
	v_mul_f64 v[18:19], v[106:107], s[36:37]
	v_fma_f64 v[30:31], v[94:95], s[24:25], -v[22:23]
	v_add_f64 v[14:15], v[14:15], v[16:17]
	v_fma_f64 v[16:17], v[94:95], s[24:25], v[22:23]
	v_fma_f64 v[22:23], v[104:105], s[20:21], v[194:195]
	;; [unrolled: 1-line block ×3, first 2 shown]
	v_fma_f64 v[182:183], v[90:91], s[16:17], -v[182:183]
	v_add_f64 v[10:11], v[8:9], v[10:11]
	v_fma_f64 v[8:9], v[92:93], s[10:11], -v[18:19]
	v_add_f64 v[30:31], v[30:31], v[180:181]
	v_add_f64 v[14:15], v[12:13], v[14:15]
	v_fma_f64 v[12:13], v[92:93], s[10:11], v[18:19]
	v_fma_f64 v[18:19], v[96:97], s[2:3], v[178:179]
	v_add_f64 v[22:23], v[24:25], v[22:23]
	v_mul_f64 v[178:179], v[83:84], s[34:35]
	v_add_f64 v[192:193], v[26:27], v[192:193]
	v_add_f64 v[182:183], v[26:27], v[182:183]
	;; [unrolled: 1-line block ×3, first 2 shown]
	v_fma_f64 v[30:31], v[78:79], s[10:11], v[28:29]
	v_fma_f64 v[28:29], v[78:79], s[10:11], -v[28:29]
	v_mul_f64 v[194:195], v[112:113], s[36:37]
	v_add_f64 v[20:21], v[20:21], v[22:23]
	v_fma_f64 v[180:181], v[81:82], s[24:25], v[178:179]
	v_fma_f64 v[178:179], v[81:82], s[24:25], -v[178:179]
	v_mul_f64 v[22:23], v[108:109], s[8:9]
	v_add_f64 v[240:241], v[240:241], v[244:245]
	v_fma_f64 v[204:205], v[96:97], s[10:11], -v[194:195]
	v_add_f64 v[18:19], v[18:19], v[20:21]
	v_add_f64 v[180:181], v[180:181], v[192:193]
	;; [unrolled: 1-line block ×3, first 2 shown]
	v_mul_f64 v[20:21], v[76:77], s[22:23]
	v_mul_f64 v[182:183], v[88:89], s[34:35]
	;; [unrolled: 1-line block ×3, first 2 shown]
	v_add_f64 v[204:205], v[204:205], v[240:241]
	v_add_f64 v[16:17], v[16:17], v[18:19]
	v_fma_f64 v[18:19], v[70:71], s[2:3], v[22:23]
	v_add_f64 v[30:31], v[30:31], v[180:181]
	v_mul_f64 v[180:181], v[110:111], s[8:9]
	v_fma_f64 v[22:23], v[70:71], s[2:3], -v[22:23]
	v_add_f64 v[28:29], v[28:29], v[178:179]
	v_fma_f64 v[178:179], v[98:99], s[24:25], v[206:207]
	v_mul_f64 v[206:207], v[85:86], s[12:13]
	v_add_f64 v[12:13], v[12:13], v[16:17]
	v_fma_f64 v[16:17], v[68:69], s[20:21], v[20:21]
	v_add_f64 v[18:19], v[18:19], v[30:31]
	v_mul_f64 v[30:31], v[106:107], s[22:23]
	v_fma_f64 v[192:193], v[94:95], s[2:3], -v[180:181]
	v_fma_f64 v[20:21], v[68:69], s[20:21], -v[20:21]
	v_add_f64 v[22:23], v[22:23], v[28:29]
	v_fma_f64 v[28:29], v[94:95], s[2:3], v[180:181]
	v_fma_f64 v[180:181], v[104:105], s[16:17], v[242:243]
	;; [unrolled: 1-line block ×3, first 2 shown]
	v_add_f64 v[18:19], v[16:17], v[18:19]
	v_fma_f64 v[16:17], v[92:93], s[20:21], -v[30:31]
	v_fma_f64 v[206:207], v[90:91], s[10:11], -v[206:207]
	v_add_f64 v[192:193], v[192:193], v[204:205]
	v_add_f64 v[22:23], v[20:21], v[22:23]
	v_fma_f64 v[20:21], v[92:93], s[20:21], v[30:31]
	v_fma_f64 v[30:31], v[96:97], s[10:11], v[194:195]
	v_add_f64 v[180:181], v[24:25], v[180:181]
	v_mul_f64 v[194:195], v[83:84], s[22:23]
	v_add_f64 v[240:241], v[26:27], v[240:241]
	v_add_f64 v[206:207], v[26:27], v[206:207]
	v_add_f64 v[16:17], v[16:17], v[192:193]
	v_fma_f64 v[192:193], v[78:79], s[24:25], v[182:183]
	v_fma_f64 v[182:183], v[78:79], s[24:25], -v[182:183]
	v_mul_f64 v[242:243], v[112:113], s[34:35]
	v_add_f64 v[178:179], v[178:179], v[180:181]
	v_fma_f64 v[204:205], v[81:82], s[20:21], v[194:195]
	v_fma_f64 v[194:195], v[81:82], s[20:21], -v[194:195]
	v_mul_f64 v[180:181], v[108:109], s[30:31]
	v_mul_f64 v[108:109], v[108:109], s[22:23]
	;; [unrolled: 1-line block ×3, first 2 shown]
	v_fma_f64 v[244:245], v[96:97], s[24:25], -v[242:243]
	v_add_f64 v[30:31], v[30:31], v[178:179]
	v_add_f64 v[204:205], v[204:205], v[240:241]
	;; [unrolled: 1-line block ×3, first 2 shown]
	v_mul_f64 v[178:179], v[76:77], s[26:27]
	v_mul_f64 v[206:207], v[85:86], s[8:9]
	;; [unrolled: 1-line block ×3, first 2 shown]
	v_add_f64 v[244:245], v[244:245], v[248:249]
	v_add_f64 v[28:29], v[28:29], v[30:31]
	v_fma_f64 v[30:31], v[70:71], s[16:17], v[180:181]
	v_add_f64 v[192:193], v[192:193], v[204:205]
	v_mul_f64 v[204:205], v[110:111], s[30:31]
	v_fma_f64 v[180:181], v[70:71], s[16:17], -v[180:181]
	v_add_f64 v[182:183], v[182:183], v[194:195]
	v_fma_f64 v[194:195], v[98:99], s[20:21], v[246:247]
	v_fma_f64 v[85:86], v[90:91], s[2:3], v[206:207]
	v_add_f64 v[20:21], v[20:21], v[28:29]
	v_fma_f64 v[28:29], v[68:69], s[2:3], v[178:179]
	v_add_f64 v[30:31], v[30:31], v[192:193]
	v_fma_f64 v[240:241], v[94:95], s[16:17], -v[204:205]
	v_mul_f64 v[192:193], v[106:107], s[26:27]
	v_add_f64 v[180:181], v[180:181], v[182:183]
	v_fma_f64 v[182:183], v[94:95], s[16:17], v[204:205]
	v_fma_f64 v[204:205], v[104:105], s[10:11], v[250:251]
	v_fma_f64 v[178:179], v[68:69], s[2:3], -v[178:179]
	v_add_f64 v[85:86], v[26:27], v[85:86]
	v_add_f64 v[30:31], v[28:29], v[30:31]
	;; [unrolled: 1-line block ×3, first 2 shown]
	v_fma_f64 v[28:29], v[92:93], s[2:3], -v[192:193]
	v_mul_f64 v[110:111], v[110:111], s[22:23]
	v_mul_f64 v[106:107], v[106:107], s[28:29]
	v_add_f64 v[204:205], v[24:25], v[204:205]
	v_add_f64 v[180:181], v[178:179], v[180:181]
	v_fma_f64 v[178:179], v[92:93], s[2:3], v[192:193]
	v_fma_f64 v[192:193], v[96:97], s[24:25], v[242:243]
	v_add_f64 v[28:29], v[28:29], v[240:241]
	v_fma_f64 v[240:241], v[104:105], s[2:3], -v[176:177]
	v_add_f64 v[194:195], v[194:195], v[204:205]
	v_mul_f64 v[204:205], v[83:84], s[12:13]
	v_add_f64 v[240:241], v[24:25], v[240:241]
	v_add_f64 v[192:193], v[192:193], v[194:195]
	v_fma_f64 v[83:84], v[81:82], s[10:11], v[204:205]
	v_fma_f64 v[194:195], v[78:79], s[16:17], v[88:89]
	v_add_f64 v[182:183], v[182:183], v[192:193]
	v_add_f64 v[83:84], v[83:84], v[85:86]
	v_fma_f64 v[192:193], v[70:71], s[20:21], v[108:109]
	v_fma_f64 v[70:71], v[70:71], s[20:21], -v[108:109]
	v_add_f64 v[178:179], v[178:179], v[182:183]
	v_fma_f64 v[182:183], v[68:69], s[24:25], v[76:77]
	v_fma_f64 v[68:69], v[68:69], s[24:25], -v[76:77]
	v_fma_f64 v[76:77], v[78:79], s[16:17], -v[88:89]
	;; [unrolled: 1-line block ×4, first 2 shown]
	v_add_f64 v[83:84], v[194:195], v[83:84]
	v_fma_f64 v[194:195], v[98:99], s[10:11], -v[114:115]
	v_fma_f64 v[88:89], v[104:105], s[2:3], v[176:177]
	v_add_f64 v[81:82], v[26:27], v[81:82]
	v_add_f64 v[26:27], v[26:27], v[72:73]
	;; [unrolled: 1-line block ×3, first 2 shown]
	v_mov_b32_e32 v241, v1
	v_mov_b32_e32 v240, v0
	v_add_f64 v[88:89], v[24:25], v[88:89]
	v_add_f64 v[24:25], v[24:25], v[66:67]
	;; [unrolled: 1-line block ×4, first 2 shown]
	v_fma_f64 v[81:82], v[98:99], s[10:11], v[114:115]
	buffer_load_dword v114, off, s[48:51], 0 ; 4-byte Folded Reload
	buffer_load_dword v0, off, s[48:51], 0 offset:396 ; 4-byte Folded Reload
	buffer_load_dword v1, off, s[48:51], 0 offset:400 ; 4-byte Folded Reload
	v_add_f64 v[26:27], v[26:27], v[64:65]
	v_fma_f64 v[192:193], v[96:97], s[16:17], -v[112:113]
	v_add_f64 v[24:25], v[24:25], v[38:39]
	v_add_f64 v[85:86], v[182:183], v[83:84]
	;; [unrolled: 1-line block ×3, first 2 shown]
	v_fma_f64 v[78:79], v[96:97], s[16:17], v[112:113]
	v_add_f64 v[81:82], v[81:82], v[88:89]
	v_fma_f64 v[182:183], v[94:95], s[20:21], -v[110:111]
	v_add_f64 v[26:27], v[26:27], v[62:63]
	v_add_f64 v[192:193], v[192:193], v[194:195]
	;; [unrolled: 1-line block ×3, first 2 shown]
	v_fma_f64 v[83:84], v[92:93], s[24:25], -v[106:107]
	v_add_f64 v[70:71], v[70:71], v[76:77]
	v_fma_f64 v[76:77], v[94:95], s[20:21], v[110:111]
	v_add_f64 v[78:79], v[78:79], v[81:82]
	v_add_f64 v[26:27], v[26:27], v[50:51]
	v_add_f64 v[182:183], v[182:183], v[192:193]
	v_add_f64 v[24:25], v[24:25], v[54:55]
	v_add_f64 v[70:71], v[68:69], v[70:71]
	v_fma_f64 v[68:69], v[92:93], s[24:25], v[106:107]
	v_add_f64 v[76:77], v[76:77], v[78:79]
	v_add_f64 v[26:27], v[26:27], v[56:57]
	;; [unrolled: 1-line block ×10, first 2 shown]
	s_waitcnt vmcnt(0)
	v_add_f64 v[24:25], v[24:25], v[0:1]
	v_add_f64 v[24:25], v[24:25], v[52:53]
	;; [unrolled: 1-line block ×5, first 2 shown]
	buffer_load_dword v32, off, s[48:51], 0 offset:356 ; 4-byte Folded Reload
	buffer_load_dword v33, off, s[48:51], 0 offset:360 ; 4-byte Folded Reload
	s_waitcnt vmcnt(1)
	v_mul_u32_u24_e32 v32, 0x42, v32
	s_waitcnt vmcnt(0)
	v_add_u32_sdwa v32, v32, v33 dst_sel:DWORD dst_unused:UNUSED_PAD src0_sel:DWORD src1_sel:BYTE_0
	buffer_load_dword v33, off, s[48:51], 0 offset:680 ; 4-byte Folded Reload
	s_waitcnt vmcnt(0)
	v_lshl_add_u32 v32, v32, 4, v33
	ds_write_b128 v32, v[24:27]
	ds_write_b128 v32, v[68:71] offset:96
	ds_write_b128 v32, v[178:181] offset:192
	;; [unrolled: 1-line block ×10, first 2 shown]
.LBB0_9:
	s_or_b64 exec, exec, s[38:39]
	s_waitcnt lgkmcnt(0)
	s_barrier
	ds_read_b128 v[2:5], v87 offset:9504
	ds_read_b128 v[6:9], v87
	ds_read_b128 v[10:13], v87 offset:1056
	ds_read_b128 v[14:17], v87 offset:8448
	;; [unrolled: 1-line block ×6, first 2 shown]
	v_mad_u64_u32 v[0:1], s[0:1], s6, v80, 0
	s_waitcnt lgkmcnt(7)
	v_mul_f64 v[34:35], v[102:103], v[4:5]
	v_mul_f64 v[38:39], v[102:103], v[2:3]
	s_waitcnt lgkmcnt(3)
	v_mul_f64 v[40:41], v[102:103], v[20:21]
	v_mul_f64 v[42:43], v[102:103], v[18:19]
	;; [unrolled: 3-line block ×3, first 2 shown]
	s_mov_b32 s0, 0xe8584caa
	s_mov_b32 s1, 0xbfebb67a
	v_fma_f64 v[44:45], v[100:101], v[2:3], v[34:35]
	ds_read_b128 v[34:37], v87 offset:12672
	v_fma_f64 v[38:39], v[100:101], v[4:5], -v[38:39]
	ds_read_b128 v[2:5], v87 offset:13728
	v_fma_f64 v[50:51], v[100:101], v[18:19], v[40:41]
	v_fma_f64 v[52:53], v[100:101], v[20:21], -v[42:43]
	s_waitcnt lgkmcnt(1)
	v_mul_f64 v[40:41], v[122:123], v[36:37]
	v_mul_f64 v[42:43], v[122:123], v[34:35]
	s_waitcnt lgkmcnt(0)
	v_mul_f64 v[54:55], v[126:127], v[4:5]
	v_mul_f64 v[56:57], v[126:127], v[2:3]
	v_fma_f64 v[46:47], v[116:117], v[22:23], v[46:47]
	v_fma_f64 v[48:49], v[116:117], v[24:25], -v[48:49]
	ds_read_b128 v[18:21], v87 offset:14784
	ds_read_b128 v[22:25], v87 offset:15840
	s_mov_b32 s3, 0x3febb67a
	v_fma_f64 v[58:59], v[120:121], v[34:35], v[40:41]
	v_fma_f64 v[60:61], v[120:121], v[36:37], -v[42:43]
	v_fma_f64 v[54:55], v[124:125], v[2:3], v[54:55]
	v_fma_f64 v[56:57], v[124:125], v[4:5], -v[56:57]
	ds_read_b128 v[2:5], v87 offset:16896
	ds_read_b128 v[34:37], v87 offset:17952
	s_waitcnt lgkmcnt(3)
	v_mul_f64 v[40:41], v[130:131], v[20:21]
	v_mul_f64 v[42:43], v[130:131], v[18:19]
	s_waitcnt lgkmcnt(2)
	v_mul_f64 v[62:63], v[134:135], v[24:25]
	v_mul_f64 v[64:65], v[134:135], v[22:23]
	;; [unrolled: 3-line block ×3, first 2 shown]
	v_mul_f64 v[70:71], v[138:139], v[2:3]
	v_add_f64 v[46:47], v[26:27], -v[46:47]
	v_fma_f64 v[66:67], v[128:129], v[18:19], v[40:41]
	v_fma_f64 v[68:69], v[128:129], v[20:21], -v[42:43]
	v_add_f64 v[18:19], v[6:7], -v[44:45]
	v_add_f64 v[20:21], v[8:9], -v[38:39]
	v_fma_f64 v[72:73], v[140:141], v[34:35], v[72:73]
	v_fma_f64 v[74:75], v[140:141], v[36:37], -v[74:75]
	v_add_f64 v[34:35], v[10:11], -v[50:51]
	v_add_f64 v[36:37], v[12:13], -v[52:53]
	v_mul_f64 v[42:43], v[138:139], v[4:5]
	v_fma_f64 v[62:63], v[132:133], v[22:23], v[62:63]
	v_fma_f64 v[6:7], v[6:7], 2.0, -v[18:19]
	v_fma_f64 v[8:9], v[8:9], 2.0, -v[20:21]
	v_fma_f64 v[64:65], v[132:133], v[24:25], -v[64:65]
	ds_read_b128 v[22:25], v87 offset:4224
	ds_read_b128 v[38:41], v87 offset:5280
	v_fma_f64 v[10:11], v[10:11], 2.0, -v[34:35]
	v_fma_f64 v[12:13], v[12:13], 2.0, -v[36:37]
	v_fma_f64 v[76:77], v[136:137], v[2:3], v[42:43]
	v_fma_f64 v[70:71], v[136:137], v[4:5], -v[70:71]
	ds_read_b128 v[2:5], v87 offset:6336
	ds_read_b128 v[42:45], v87 offset:7392
	s_waitcnt lgkmcnt(0)
	s_barrier
	ds_write_b128 v87, v[6:9]
	ds_write_b128 v87, v[18:21] offset:1056
	ds_write_b128 v87, v[10:13] offset:2112
	;; [unrolled: 1-line block ×3, first 2 shown]
	buffer_load_dword v6, off, s[48:51], 0 offset:64 ; 4-byte Folded Reload
	v_add_f64 v[48:49], v[28:29], -v[48:49]
	v_fma_f64 v[26:27], v[26:27], 2.0, -v[46:47]
	v_add_f64 v[50:51], v[30:31], -v[58:59]
	v_add_f64 v[52:53], v[32:33], -v[60:61]
	;; [unrolled: 1-line block ×6, first 2 shown]
	v_fma_f64 v[28:29], v[28:29], 2.0, -v[48:49]
	v_add_f64 v[62:63], v[2:3], -v[62:63]
	v_fma_f64 v[30:31], v[30:31], 2.0, -v[50:51]
	v_fma_f64 v[32:33], v[32:33], 2.0, -v[52:53]
	;; [unrolled: 1-line block ×6, first 2 shown]
	v_add_f64 v[64:65], v[4:5], -v[64:65]
	v_fma_f64 v[2:3], v[2:3], 2.0, -v[62:63]
	v_add_f64 v[66:67], v[42:43], -v[76:77]
	v_add_f64 v[68:69], v[44:45], -v[70:71]
	;; [unrolled: 1-line block ×4, first 2 shown]
	s_mov_b32 s2, s0
	s_waitcnt vmcnt(0)
	ds_write_b128 v6, v[26:29] offset:4224
	ds_write_b128 v6, v[46:49] offset:5280
	buffer_load_dword v6, off, s[48:51], 0 offset:364 ; 4-byte Folded Reload
	v_fma_f64 v[4:5], v[4:5], 2.0, -v[64:65]
	v_fma_f64 v[42:43], v[42:43], 2.0, -v[66:67]
	;; [unrolled: 1-line block ×5, first 2 shown]
	s_waitcnt vmcnt(0)
	ds_write_b128 v6, v[30:33] offset:6336
	ds_write_b128 v6, v[50:53] offset:7392
	buffer_load_dword v6, off, s[48:51], 0 offset:368 ; 4-byte Folded Reload
	s_waitcnt vmcnt(0)
	ds_write_b128 v6, v[22:25] offset:8448
	ds_write_b128 v6, v[54:57] offset:9504
	buffer_load_dword v6, off, s[48:51], 0 offset:372 ; 4-byte Folded Reload
	s_waitcnt vmcnt(0)
	ds_write_b128 v6, v[38:41] offset:10560
	ds_write_b128 v6, v[58:61] offset:11616
	buffer_load_dword v6, off, s[48:51], 0 offset:376 ; 4-byte Folded Reload
	s_waitcnt vmcnt(0)
	ds_write_b128 v6, v[2:5] offset:12672
	ds_write_b128 v6, v[62:65] offset:13728
	buffer_load_dword v2, off, s[48:51], 0 offset:380 ; 4-byte Folded Reload
	s_waitcnt vmcnt(0)
	ds_write_b128 v2, v[42:45] offset:14784
	ds_write_b128 v2, v[66:69] offset:15840
	buffer_load_dword v2, off, s[48:51], 0 offset:384 ; 4-byte Folded Reload
	s_waitcnt vmcnt(0)
	ds_write_b128 v2, v[14:17] offset:16896
	ds_write_b128 v2, v[70:73] offset:17952
	s_waitcnt lgkmcnt(0)
	s_barrier
	ds_read_b128 v[2:5], v87
	ds_read_b128 v[6:9], v87 offset:1056
	ds_read_b128 v[10:13], v87 offset:6336
	;; [unrolled: 1-line block ×11, first 2 shown]
	s_waitcnt lgkmcnt(9)
	v_mul_f64 v[76:77], v[150:151], v[10:11]
	v_mul_f64 v[74:75], v[150:151], v[12:13]
	s_waitcnt lgkmcnt(7)
	v_mul_f64 v[78:79], v[146:147], v[20:21]
	v_mul_f64 v[81:82], v[158:159], v[14:15]
	s_waitcnt lgkmcnt(6)
	v_mul_f64 v[83:84], v[154:155], v[22:23]
	s_waitcnt lgkmcnt(3)
	v_mul_f64 v[85:86], v[150:151], v[36:37]
	ds_read_b128 v[50:53], v87 offset:4224
	ds_read_b128 v[54:57], v87 offset:5280
	;; [unrolled: 1-line block ×4, first 2 shown]
	v_fma_f64 v[12:13], v[148:149], v[12:13], -v[76:77]
	v_mul_f64 v[76:77], v[158:159], v[16:17]
	v_fma_f64 v[74:75], v[148:149], v[10:11], v[74:75]
	v_mul_f64 v[10:11], v[146:147], v[18:19]
	v_fma_f64 v[18:19], v[144:145], v[18:19], v[78:79]
	v_mul_f64 v[78:79], v[154:155], v[24:25]
	v_fma_f64 v[81:82], v[156:157], v[16:17], -v[81:82]
	s_waitcnt lgkmcnt(5)
	v_mul_f64 v[16:17], v[146:147], v[42:43]
	ds_read_b128 v[66:69], v87 offset:16896
	ds_read_b128 v[70:73], v87 offset:17952
	v_fma_f64 v[76:77], v[156:157], v[14:15], v[76:77]
	v_mul_f64 v[14:15], v[146:147], v[44:45]
	v_fma_f64 v[20:21], v[144:145], v[20:21], -v[10:11]
	v_mul_f64 v[10:11], v[150:151], v[34:35]
	v_fma_f64 v[22:23], v[152:153], v[22:23], v[78:79]
	v_mul_f64 v[78:79], v[158:159], v[38:39]
	v_fma_f64 v[24:25], v[152:153], v[24:25], -v[83:84]
	v_fma_f64 v[34:35], v[148:149], v[34:35], v[85:86]
	s_waitcnt lgkmcnt(6)
	v_mul_f64 v[83:84], v[154:155], v[46:47]
	v_fma_f64 v[42:43], v[144:145], v[42:43], v[14:15]
	v_mul_f64 v[14:15], v[154:155], v[48:49]
	v_fma_f64 v[36:37], v[148:149], v[36:37], -v[10:11]
	v_mul_f64 v[10:11], v[158:159], v[40:41]
	s_waitcnt lgkmcnt(3)
	v_mul_f64 v[85:86], v[166:167], v[60:61]
	v_fma_f64 v[44:45], v[144:145], v[44:45], -v[16:17]
	v_mul_f64 v[16:17], v[166:167], v[58:59]
	v_fma_f64 v[78:79], v[156:157], v[40:41], -v[78:79]
	s_waitcnt lgkmcnt(0)
	v_mul_f64 v[40:41], v[170:171], v[72:73]
	v_fma_f64 v[46:47], v[152:153], v[46:47], v[14:15]
	v_mul_f64 v[14:15], v[162:163], v[66:67]
	v_fma_f64 v[88:89], v[156:157], v[38:39], v[10:11]
	v_mul_f64 v[10:11], v[162:163], v[68:69]
	v_fma_f64 v[48:49], v[152:153], v[48:49], -v[83:84]
	v_fma_f64 v[83:84], v[164:165], v[58:59], v[85:86]
	v_fma_f64 v[60:61], v[164:165], v[60:61], -v[16:17]
	v_mul_f64 v[16:17], v[174:175], v[64:65]
	v_add_f64 v[38:39], v[74:75], v[18:19]
	v_mul_f64 v[58:59], v[170:171], v[70:71]
	v_fma_f64 v[68:69], v[160:161], v[68:69], -v[14:15]
	v_add_f64 v[14:15], v[2:3], v[74:75]
	v_fma_f64 v[70:71], v[168:169], v[70:71], v[40:41]
	v_add_f64 v[40:41], v[12:13], v[20:21]
	v_fma_f64 v[66:67], v[160:161], v[66:67], v[10:11]
	v_mul_f64 v[10:11], v[174:175], v[62:63]
	v_fma_f64 v[85:86], v[172:173], v[62:63], v[16:17]
	v_fma_f64 v[16:17], v[38:39], -0.5, v[2:3]
	v_add_f64 v[38:39], v[12:13], -v[20:21]
	v_fma_f64 v[72:73], v[168:169], v[72:73], -v[58:59]
	v_add_f64 v[2:3], v[14:15], v[18:19]
	v_add_f64 v[12:13], v[4:5], v[12:13]
	;; [unrolled: 1-line block ×3, first 2 shown]
	v_fma_f64 v[40:41], v[40:41], -0.5, v[4:5]
	v_add_f64 v[18:19], v[74:75], -v[18:19]
	v_fma_f64 v[64:65], v[172:173], v[64:65], -v[10:11]
	v_fma_f64 v[10:11], v[38:39], s[0:1], v[16:17]
	v_fma_f64 v[14:15], v[38:39], s[2:3], v[16:17]
	v_add_f64 v[38:39], v[6:7], v[76:77]
	v_add_f64 v[4:5], v[12:13], v[20:21]
	;; [unrolled: 1-line block ×3, first 2 shown]
	v_fma_f64 v[58:59], v[58:59], -0.5, v[6:7]
	v_add_f64 v[62:63], v[81:82], -v[24:25]
	v_fma_f64 v[12:13], v[18:19], s[2:3], v[40:41]
	v_fma_f64 v[16:17], v[18:19], s[0:1], v[40:41]
	v_add_f64 v[40:41], v[8:9], v[81:82]
	v_add_f64 v[6:7], v[38:39], v[22:23]
	;; [unrolled: 1-line block ×3, first 2 shown]
	v_fma_f64 v[74:75], v[20:21], -0.5, v[8:9]
	v_add_f64 v[76:77], v[76:77], -v[22:23]
	v_fma_f64 v[18:19], v[62:63], s[0:1], v[58:59]
	v_fma_f64 v[22:23], v[62:63], s[2:3], v[58:59]
	v_add_f64 v[58:59], v[26:27], v[34:35]
	v_add_f64 v[8:9], v[40:41], v[24:25]
	;; [unrolled: 1-line block ×3, first 2 shown]
	v_add_f64 v[62:63], v[36:37], -v[44:45]
	v_add_f64 v[36:37], v[28:29], v[36:37]
	v_fma_f64 v[38:39], v[38:39], -0.5, v[26:27]
	v_fma_f64 v[20:21], v[76:77], s[2:3], v[74:75]
	v_fma_f64 v[24:25], v[76:77], s[0:1], v[74:75]
	v_add_f64 v[26:27], v[58:59], v[42:43]
	v_add_f64 v[58:59], v[88:89], v[46:47]
	v_fma_f64 v[40:41], v[40:41], -0.5, v[28:29]
	v_add_f64 v[42:43], v[34:35], -v[42:43]
	v_add_f64 v[28:29], v[36:37], v[44:45]
	v_add_f64 v[44:45], v[78:79], v[48:49]
	v_fma_f64 v[34:35], v[62:63], s[0:1], v[38:39]
	v_fma_f64 v[38:39], v[62:63], s[2:3], v[38:39]
	v_add_f64 v[62:63], v[30:31], v[88:89]
	v_fma_f64 v[58:59], v[58:59], -0.5, v[30:31]
	v_add_f64 v[74:75], v[78:79], -v[48:49]
	v_add_f64 v[78:79], v[32:33], v[78:79]
	v_add_f64 v[88:89], v[88:89], -v[46:47]
	v_fma_f64 v[81:82], v[44:45], -0.5, v[32:33]
	v_fma_f64 v[36:37], v[42:43], s[2:3], v[40:41]
	v_fma_f64 v[40:41], v[42:43], s[0:1], v[40:41]
	v_add_f64 v[30:31], v[62:63], v[46:47]
	v_fma_f64 v[42:43], v[74:75], s[0:1], v[58:59]
	v_fma_f64 v[46:47], v[74:75], s[2:3], v[58:59]
	v_add_f64 v[32:33], v[78:79], v[48:49]
	v_fma_f64 v[44:45], v[88:89], s[2:3], v[81:82]
	v_fma_f64 v[48:49], v[88:89], s[0:1], v[81:82]
	s_barrier
	ds_write_b128 v87, v[2:5]
	ds_write_b128 v87, v[10:13] offset:2112
	ds_write_b128 v87, v[14:17] offset:4224
	;; [unrolled: 1-line block ×11, first 2 shown]
	buffer_load_dword v2, off, s[48:51], 0 offset:388 ; 4-byte Folded Reload
	v_add_f64 v[76:77], v[83:84], v[66:67]
	v_add_f64 v[62:63], v[50:51], v[83:84]
	;; [unrolled: 1-line block ×3, first 2 shown]
	v_add_f64 v[90:91], v[60:61], -v[68:69]
	v_add_f64 v[60:61], v[52:53], v[60:61]
	v_add_f64 v[88:89], v[56:57], v[64:65]
	;; [unrolled: 1-line block ×4, first 2 shown]
	v_fma_f64 v[76:77], v[76:77], -0.5, v[50:51]
	v_add_f64 v[50:51], v[62:63], v[66:67]
	v_fma_f64 v[74:75], v[74:75], -0.5, v[52:53]
	v_add_f64 v[66:67], v[83:84], -v[66:67]
	v_add_f64 v[52:53], v[60:61], v[68:69]
	v_add_f64 v[83:84], v[64:65], -v[72:73]
	v_fma_f64 v[78:79], v[78:79], -0.5, v[54:55]
	v_add_f64 v[85:86], v[85:86], -v[70:71]
	v_fma_f64 v[58:59], v[90:91], s[0:1], v[76:77]
	v_fma_f64 v[62:63], v[90:91], s[2:3], v[76:77]
	v_add_f64 v[76:77], v[64:65], v[72:73]
	v_fma_f64 v[60:61], v[66:67], s[2:3], v[74:75]
	v_fma_f64 v[64:65], v[66:67], s[0:1], v[74:75]
	v_add_f64 v[54:55], v[81:82], v[70:71]
	v_fma_f64 v[66:67], v[83:84], s[0:1], v[78:79]
	v_fma_f64 v[70:71], v[83:84], s[2:3], v[78:79]
	s_waitcnt vmcnt(0)
	ds_write_b128 v2, v[50:53] offset:12672
	ds_write_b128 v2, v[58:61] offset:14784
	;; [unrolled: 1-line block ×3, first 2 shown]
	buffer_load_dword v2, off, s[48:51], 0 offset:392 ; 4-byte Folded Reload
	v_fma_f64 v[76:77], v[76:77], -0.5, v[56:57]
	v_add_f64 v[56:57], v[88:89], v[72:73]
	v_fma_f64 v[68:69], v[85:86], s[2:3], v[76:77]
	v_fma_f64 v[72:73], v[85:86], s[0:1], v[76:77]
	s_waitcnt vmcnt(0)
	ds_write_b128 v2, v[54:57] offset:12672
	ds_write_b128 v2, v[66:69] offset:14784
	;; [unrolled: 1-line block ×3, first 2 shown]
	s_waitcnt lgkmcnt(0)
	s_barrier
	ds_read_b128 v[2:5], v87
	ds_read_b128 v[6:9], v87 offset:1056
	ds_read_b128 v[10:13], v87 offset:6336
	;; [unrolled: 1-line block ×13, first 2 shown]
	s_waitcnt lgkmcnt(11)
	v_mul_f64 v[74:75], v[190:191], v[12:13]
	v_mul_f64 v[76:77], v[190:191], v[10:11]
	s_waitcnt lgkmcnt(9)
	v_mul_f64 v[81:82], v[186:187], v[18:19]
	v_mul_f64 v[78:79], v[186:187], v[20:21]
	ds_read_b128 v[58:61], v87 offset:10560
	ds_read_b128 v[62:65], v87 offset:11616
	s_waitcnt lgkmcnt(7)
	v_mul_f64 v[83:84], v[214:215], v[36:37]
	ds_read_b128 v[66:69], v87 offset:16896
	ds_read_b128 v[70:73], v87 offset:17952
	v_fma_f64 v[10:11], v[188:189], v[10:11], v[74:75]
	v_mul_f64 v[74:75], v[202:203], v[16:17]
	v_fma_f64 v[12:13], v[188:189], v[12:13], -v[76:77]
	v_mul_f64 v[76:77], v[202:203], v[14:15]
	v_fma_f64 v[20:21], v[184:185], v[20:21], -v[81:82]
	v_mul_f64 v[81:82], v[198:199], v[22:23]
	v_fma_f64 v[18:19], v[184:185], v[18:19], v[78:79]
	v_mul_f64 v[78:79], v[198:199], v[24:25]
	v_fma_f64 v[74:75], v[200:201], v[14:15], v[74:75]
	v_mul_f64 v[14:15], v[214:215], v[34:35]
	v_fma_f64 v[76:77], v[200:201], v[16:17], -v[76:77]
	s_waitcnt lgkmcnt(7)
	v_mul_f64 v[16:17], v[210:211], v[44:45]
	v_fma_f64 v[24:25], v[196:197], v[24:25], -v[81:82]
	v_mul_f64 v[81:82], v[222:223], v[40:41]
	v_fma_f64 v[22:23], v[196:197], v[22:23], v[78:79]
	v_mul_f64 v[78:79], v[210:211], v[42:43]
	v_fma_f64 v[34:35], v[212:213], v[34:35], v[83:84]
	v_fma_f64 v[36:37], v[212:213], v[36:37], -v[14:15]
	v_mul_f64 v[14:15], v[222:223], v[38:39]
	v_fma_f64 v[42:43], v[208:209], v[42:43], v[16:17]
	s_waitcnt lgkmcnt(6)
	v_mul_f64 v[16:17], v[218:219], v[48:49]
	v_fma_f64 v[81:82], v[220:221], v[38:39], v[81:82]
	s_waitcnt lgkmcnt(3)
	v_mul_f64 v[38:39], v[230:231], v[58:59]
	v_fma_f64 v[44:45], v[208:209], v[44:45], -v[78:79]
	v_mul_f64 v[78:79], v[218:219], v[46:47]
	v_mul_f64 v[83:84], v[230:231], v[60:61]
	v_fma_f64 v[85:86], v[220:221], v[40:41], -v[14:15]
	s_waitcnt lgkmcnt(1)
	v_mul_f64 v[14:15], v[226:227], v[68:69]
	v_fma_f64 v[46:47], v[216:217], v[46:47], v[16:17]
	v_mul_f64 v[16:17], v[226:227], v[66:67]
	v_mul_f64 v[40:41], v[238:239], v[64:65]
	v_fma_f64 v[60:61], v[228:229], v[60:61], -v[38:39]
	v_mul_f64 v[38:39], v[238:239], v[62:63]
	v_fma_f64 v[48:49], v[216:217], v[48:49], -v[78:79]
	v_fma_f64 v[78:79], v[228:229], v[58:59], v[83:84]
	v_fma_f64 v[66:67], v[224:225], v[66:67], v[14:15]
	v_add_f64 v[14:15], v[10:11], v[18:19]
	v_fma_f64 v[68:69], v[224:225], v[68:69], -v[16:17]
	s_waitcnt lgkmcnt(0)
	v_mul_f64 v[16:17], v[234:235], v[72:73]
	v_fma_f64 v[83:84], v[236:237], v[62:63], v[40:41]
	v_add_f64 v[40:41], v[2:3], v[10:11]
	v_fma_f64 v[64:65], v[236:237], v[64:65], -v[38:39]
	v_add_f64 v[38:39], v[12:13], v[20:21]
	v_mul_f64 v[58:59], v[234:235], v[70:71]
	v_fma_f64 v[14:15], v[14:15], -0.5, v[2:3]
	v_add_f64 v[62:63], v[12:13], -v[20:21]
	v_fma_f64 v[70:71], v[232:233], v[70:71], v[16:17]
	v_add_f64 v[12:13], v[4:5], v[12:13]
	v_add_f64 v[2:3], v[40:41], v[18:19]
	;; [unrolled: 1-line block ×3, first 2 shown]
	v_fma_f64 v[38:39], v[38:39], -0.5, v[4:5]
	v_add_f64 v[18:19], v[10:11], -v[18:19]
	v_fma_f64 v[72:73], v[232:233], v[72:73], -v[58:59]
	v_fma_f64 v[10:11], v[62:63], s[0:1], v[14:15]
	v_fma_f64 v[14:15], v[62:63], s[2:3], v[14:15]
	v_add_f64 v[40:41], v[6:7], v[74:75]
	v_add_f64 v[4:5], v[12:13], v[20:21]
	;; [unrolled: 1-line block ×3, first 2 shown]
	v_fma_f64 v[58:59], v[16:17], -0.5, v[6:7]
	v_add_f64 v[62:63], v[76:77], -v[24:25]
	v_fma_f64 v[12:13], v[18:19], s[2:3], v[38:39]
	v_fma_f64 v[16:17], v[18:19], s[0:1], v[38:39]
	v_add_f64 v[38:39], v[8:9], v[76:77]
	v_add_f64 v[6:7], v[40:41], v[22:23]
	;; [unrolled: 1-line block ×3, first 2 shown]
	v_fma_f64 v[76:77], v[20:21], -0.5, v[8:9]
	v_add_f64 v[74:75], v[74:75], -v[22:23]
	v_fma_f64 v[18:19], v[62:63], s[0:1], v[58:59]
	v_fma_f64 v[22:23], v[62:63], s[2:3], v[58:59]
	v_add_f64 v[58:59], v[26:27], v[34:35]
	v_add_f64 v[8:9], v[38:39], v[24:25]
	;; [unrolled: 1-line block ×3, first 2 shown]
	v_add_f64 v[62:63], v[36:37], -v[44:45]
	v_add_f64 v[36:37], v[28:29], v[36:37]
	v_fma_f64 v[40:41], v[40:41], -0.5, v[26:27]
	v_fma_f64 v[20:21], v[74:75], s[2:3], v[76:77]
	v_fma_f64 v[24:25], v[74:75], s[0:1], v[76:77]
	v_add_f64 v[26:27], v[58:59], v[42:43]
	v_add_f64 v[58:59], v[81:82], v[46:47]
	v_fma_f64 v[74:75], v[38:39], -0.5, v[28:29]
	v_add_f64 v[42:43], v[34:35], -v[42:43]
	v_add_f64 v[28:29], v[36:37], v[44:45]
	v_add_f64 v[44:45], v[85:86], v[48:49]
	v_fma_f64 v[34:35], v[62:63], s[0:1], v[40:41]
	v_fma_f64 v[38:39], v[62:63], s[2:3], v[40:41]
	v_add_f64 v[62:63], v[30:31], v[81:82]
	v_fma_f64 v[58:59], v[58:59], -0.5, v[30:31]
	v_add_f64 v[76:77], v[85:86], -v[48:49]
	v_fma_f64 v[36:37], v[42:43], s[2:3], v[74:75]
	v_add_f64 v[88:89], v[78:79], v[66:67]
	v_fma_f64 v[40:41], v[42:43], s[0:1], v[74:75]
	v_add_f64 v[74:75], v[32:33], v[85:86]
	v_fma_f64 v[85:86], v[44:45], -0.5, v[32:33]
	v_add_f64 v[81:82], v[81:82], -v[46:47]
	v_add_f64 v[30:31], v[62:63], v[46:47]
	v_fma_f64 v[42:43], v[76:77], s[0:1], v[58:59]
	v_add_f64 v[62:63], v[50:51], v[78:79]
	v_fma_f64 v[88:89], v[88:89], -0.5, v[50:51]
	v_add_f64 v[90:91], v[60:61], -v[68:69]
	v_fma_f64 v[46:47], v[76:77], s[2:3], v[58:59]
	v_add_f64 v[32:33], v[74:75], v[48:49]
	v_fma_f64 v[44:45], v[81:82], s[2:3], v[85:86]
	v_add_f64 v[74:75], v[60:61], v[68:69]
	;; [unrolled: 2-line block ×3, first 2 shown]
	v_add_f64 v[81:82], v[64:65], v[72:73]
	v_add_f64 v[50:51], v[62:63], v[66:67]
	v_fma_f64 v[58:59], v[90:91], s[0:1], v[88:89]
	v_fma_f64 v[62:63], v[90:91], s[2:3], v[88:89]
	v_add_f64 v[60:61], v[52:53], v[60:61]
	v_fma_f64 v[74:75], v[74:75], -0.5, v[52:53]
	v_add_f64 v[66:67], v[78:79], -v[66:67]
	v_add_f64 v[78:79], v[54:55], v[83:84]
	v_fma_f64 v[76:77], v[76:77], -0.5, v[54:55]
	v_add_f64 v[85:86], v[64:65], -v[72:73]
	;; [unrolled: 3-line block ×3, first 2 shown]
	v_add_f64 v[52:53], v[60:61], v[68:69]
	v_fma_f64 v[60:61], v[66:67], s[2:3], v[74:75]
	v_fma_f64 v[64:65], v[66:67], s[0:1], v[74:75]
	v_add_f64 v[54:55], v[78:79], v[70:71]
	v_fma_f64 v[66:67], v[85:86], s[0:1], v[76:77]
	v_fma_f64 v[70:71], v[85:86], s[2:3], v[76:77]
	;; [unrolled: 3-line block ×3, first 2 shown]
	ds_write_b128 v87, v[2:5]
	ds_write_b128 v87, v[10:13] offset:6336
	ds_write_b128 v87, v[14:17] offset:12672
	;; [unrolled: 1-line block ×17, first 2 shown]
	s_waitcnt lgkmcnt(0)
	s_barrier
	ds_read_b128 v[2:5], v87
	ds_read_b128 v[6:9], v87 offset:1056
	buffer_load_dword v15, off, s[48:51], 0 offset:100 ; 4-byte Folded Reload
	buffer_load_dword v16, off, s[48:51], 0 offset:104 ; 4-byte Folded Reload
	;; [unrolled: 1-line block ×4, first 2 shown]
	v_mov_b32_e32 v24, s15
	s_waitcnt lgkmcnt(1)
	v_mad_u64_u32 v[12:13], s[0:1], s7, v80, v[1:2]
	v_mov_b32_e32 v1, v12
	v_lshlrev_b64 v[0:1], 4, v[0:1]
	v_add_co_u32_e32 v25, vcc, s14, v0
	v_addc_co_u32_e32 v24, vcc, v24, v1, vcc
	s_waitcnt vmcnt(0)
	v_mul_f64 v[10:11], v[17:18], v[4:5]
	v_mul_f64 v[13:14], v[17:18], v[2:3]
	v_mad_u64_u32 v[18:19], s[0:1], s4, v254, 0
	s_mov_b32 s0, 0x2b18ff23
	s_mov_b32 s1, 0x3f4b951e
	v_fma_f64 v[2:3], v[15:16], v[2:3], v[10:11]
	v_mov_b32_e32 v10, v19
	v_fma_f64 v[4:5], v[15:16], v[4:5], -v[13:14]
	v_mad_u64_u32 v[14:15], s[2:3], s5, v254, v[10:11]
	ds_read_b128 v[10:13], v87 offset:3168
	s_mul_i32 s2, s5, 0xc60
	v_mov_b32_e32 v19, v14
	ds_read_b128 v[14:17], v87 offset:2112
	buffer_load_dword v26, off, s[48:51], 0 offset:68 ; 4-byte Folded Reload
	buffer_load_dword v27, off, s[48:51], 0 offset:72 ; 4-byte Folded Reload
	buffer_load_dword v28, off, s[48:51], 0 offset:76 ; 4-byte Folded Reload
	buffer_load_dword v29, off, s[48:51], 0 offset:80 ; 4-byte Folded Reload
	v_mul_f64 v[2:3], v[2:3], s[0:1]
	v_mul_f64 v[4:5], v[4:5], s[0:1]
	v_lshlrev_b64 v[0:1], 4, v[18:19]
	s_mul_hi_u32 s3, s4, 0xc60
	s_add_i32 s2, s3, s2
	s_mul_i32 s3, s4, 0xc60
	v_mov_b32_e32 v35, s2
	v_mov_b32_e32 v40, s2
	;; [unrolled: 1-line block ×3, first 2 shown]
	s_mulk_i32 s5, 0xc640
	s_waitcnt vmcnt(0) lgkmcnt(1)
	v_mul_f64 v[20:21], v[28:29], v[12:13]
	v_mul_f64 v[22:23], v[28:29], v[10:11]
	v_fma_f64 v[18:19], v[26:27], v[10:11], v[20:21]
	v_fma_f64 v[20:21], v[26:27], v[12:13], -v[22:23]
	v_add_co_u32_e32 v26, vcc, v25, v0
	v_addc_co_u32_e32 v27, vcc, v24, v1, vcc
	global_store_dwordx4 v[26:27], v[2:5], off
	ds_read_b128 v[10:13], v87 offset:6336
	v_mul_f64 v[0:1], v[18:19], s[0:1]
	v_mul_f64 v[2:3], v[20:21], s[0:1]
	ds_read_b128 v[18:21], v87 offset:7392
	buffer_load_dword v30, off, s[48:51], 0 offset:340 ; 4-byte Folded Reload
	buffer_load_dword v31, off, s[48:51], 0 offset:344 ; 4-byte Folded Reload
	;; [unrolled: 1-line block ×4, first 2 shown]
	ds_read_b128 v[22:25], v87 offset:9504
	v_add_co_u32_e32 v34, vcc, s3, v26
	v_addc_co_u32_e32 v35, vcc, v27, v35, vcc
	s_waitcnt vmcnt(0) lgkmcnt(2)
	v_mul_f64 v[4:5], v[32:33], v[12:13]
	v_mul_f64 v[28:29], v[32:33], v[10:11]
	v_fma_f64 v[4:5], v[30:31], v[10:11], v[4:5]
	v_fma_f64 v[28:29], v[30:31], v[12:13], -v[28:29]
	ds_read_b128 v[10:13], v87 offset:8448
	buffer_load_dword v36, off, s[48:51], 0 offset:324 ; 4-byte Folded Reload
	buffer_load_dword v37, off, s[48:51], 0 offset:328 ; 4-byte Folded Reload
	;; [unrolled: 1-line block ×4, first 2 shown]
	s_waitcnt vmcnt(0) lgkmcnt(1)
	v_mul_f64 v[30:31], v[38:39], v[24:25]
	v_mul_f64 v[32:33], v[38:39], v[22:23]
	global_store_dwordx4 v[34:35], v[0:3], off
	v_add_co_u32_e32 v34, vcc, s3, v34
	v_mul_f64 v[0:1], v[4:5], s[0:1]
	v_mul_f64 v[2:3], v[28:29], s[0:1]
	ds_read_b128 v[26:29], v87 offset:12672
	v_fma_f64 v[4:5], v[36:37], v[22:23], v[30:31]
	v_fma_f64 v[30:31], v[36:37], v[24:25], -v[32:33]
	ds_read_b128 v[22:25], v87 offset:13728
	buffer_load_dword v43, off, s[48:51], 0 offset:292 ; 4-byte Folded Reload
	buffer_load_dword v44, off, s[48:51], 0 offset:296 ; 4-byte Folded Reload
	buffer_load_dword v45, off, s[48:51], 0 offset:300 ; 4-byte Folded Reload
	buffer_load_dword v46, off, s[48:51], 0 offset:304 ; 4-byte Folded Reload
	v_addc_co_u32_e32 v35, vcc, v35, v40, vcc
	global_store_dwordx4 v[34:35], v[0:3], off
	v_add_co_u32_e32 v34, vcc, s3, v34
	v_mul_f64 v[0:1], v[4:5], s[0:1]
	v_mul_f64 v[2:3], v[30:31], s[0:1]
	ds_read_b128 v[30:33], v87 offset:15840
	v_addc_co_u32_e32 v35, vcc, v35, v42, vcc
	s_waitcnt vmcnt(1) lgkmcnt(2)
	v_mul_f64 v[36:37], v[45:46], v[28:29]
	v_mul_f64 v[38:39], v[45:46], v[26:27]
	v_fma_f64 v[4:5], v[43:44], v[26:27], v[36:37]
	v_fma_f64 v[36:37], v[43:44], v[28:29], -v[38:39]
	ds_read_b128 v[26:29], v87 offset:14784
	buffer_load_dword v43, off, s[48:51], 0 offset:180 ; 4-byte Folded Reload
	buffer_load_dword v44, off, s[48:51], 0 offset:184 ; 4-byte Folded Reload
	;; [unrolled: 1-line block ×4, first 2 shown]
	s_waitcnt vmcnt(0) lgkmcnt(1)
	v_mul_f64 v[38:39], v[45:46], v[32:33]
	v_mul_f64 v[40:41], v[45:46], v[30:31]
	global_store_dwordx4 v[34:35], v[0:3], off
	v_add_co_u32_e32 v34, vcc, s3, v34
	v_mul_f64 v[0:1], v[4:5], s[0:1]
	v_mul_f64 v[2:3], v[36:37], s[0:1]
	v_addc_co_u32_e32 v35, vcc, v35, v42, vcc
	v_fma_f64 v[4:5], v[43:44], v[30:31], v[38:39]
	v_fma_f64 v[30:31], v[43:44], v[32:33], -v[40:41]
	buffer_load_dword v43, off, s[48:51], 0 offset:84 ; 4-byte Folded Reload
	buffer_load_dword v44, off, s[48:51], 0 offset:88 ; 4-byte Folded Reload
	;; [unrolled: 1-line block ×4, first 2 shown]
	v_mov_b32_e32 v42, 0xffffc640
	global_store_dwordx4 v[34:35], v[0:3], off
	v_add_co_u32_e32 v34, vcc, s3, v34
	v_mul_f64 v[0:1], v[4:5], s[0:1]
	v_mul_f64 v[2:3], v[30:31], s[0:1]
	v_mov_b32_e32 v30, s2
	v_addc_co_u32_e32 v35, vcc, v35, v30, vcc
	s_waitcnt vmcnt(1)
	v_mul_f64 v[32:33], v[45:46], v[8:9]
	v_mul_f64 v[36:37], v[45:46], v[6:7]
	v_fma_f64 v[38:39], v[43:44], v[6:7], v[32:33]
	v_fma_f64 v[8:9], v[43:44], v[8:9], -v[36:37]
	ds_read_b128 v[4:7], v87 offset:4224
	ds_read_b128 v[30:33], v87 offset:5280
	buffer_load_dword v43, off, s[48:51], 0 offset:244 ; 4-byte Folded Reload
	buffer_load_dword v44, off, s[48:51], 0 offset:248 ; 4-byte Folded Reload
	;; [unrolled: 1-line block ×4, first 2 shown]
	s_waitcnt vmcnt(0) lgkmcnt(1)
	v_mul_f64 v[40:41], v[45:46], v[4:5]
	global_store_dwordx4 v[34:35], v[0:3], off
	v_mul_f64 v[36:37], v[45:46], v[6:7]
	v_mul_f64 v[0:1], v[38:39], s[0:1]
	;; [unrolled: 1-line block ×3, first 2 shown]
	v_mad_u64_u32 v[8:9], s[6:7], s4, v42, v[34:35]
	s_sub_i32 s6, s5, s4
	v_fma_f64 v[6:7], v[43:44], v[6:7], -v[40:41]
	buffer_load_dword v38, off, s[48:51], 0 offset:228 ; 4-byte Folded Reload
	buffer_load_dword v39, off, s[48:51], 0 offset:232 ; 4-byte Folded Reload
	;; [unrolled: 1-line block ×4, first 2 shown]
	v_fma_f64 v[4:5], v[43:44], v[4:5], v[36:37]
	v_add_u32_e32 v9, s6, v9
	global_store_dwordx4 v[8:9], v[0:3], off
	v_mov_b32_e32 v43, s2
	v_add_co_u32_e32 v8, vcc, s3, v8
	v_mul_f64 v[2:3], v[6:7], s[0:1]
	v_addc_co_u32_e32 v9, vcc, v9, v43, vcc
	v_mul_f64 v[0:1], v[4:5], s[0:1]
	ds_read_b128 v[4:7], v87 offset:10560
	s_waitcnt vmcnt(1)
	v_mul_f64 v[34:35], v[40:41], v[20:21]
	v_mul_f64 v[36:37], v[40:41], v[18:19]
	v_fma_f64 v[34:35], v[38:39], v[18:19], v[34:35]
	v_fma_f64 v[36:37], v[38:39], v[20:21], -v[36:37]
	ds_read_b128 v[18:21], v87 offset:11616
	buffer_load_dword v44, off, s[48:51], 0 offset:196 ; 4-byte Folded Reload
	buffer_load_dword v45, off, s[48:51], 0 offset:200 ; 4-byte Folded Reload
	;; [unrolled: 1-line block ×4, first 2 shown]
	s_waitcnt vmcnt(0) lgkmcnt(1)
	v_mul_f64 v[38:39], v[46:47], v[6:7]
	v_mul_f64 v[40:41], v[46:47], v[4:5]
	global_store_dwordx4 v[8:9], v[0:3], off
	v_add_co_u32_e32 v8, vcc, s3, v8
	v_mul_f64 v[0:1], v[34:35], s[0:1]
	v_mul_f64 v[2:3], v[36:37], s[0:1]
	v_addc_co_u32_e32 v9, vcc, v9, v43, vcc
	v_fma_f64 v[4:5], v[44:45], v[4:5], v[38:39]
	v_fma_f64 v[6:7], v[44:45], v[6:7], -v[40:41]
	buffer_load_dword v38, off, s[48:51], 0 offset:164 ; 4-byte Folded Reload
	buffer_load_dword v39, off, s[48:51], 0 offset:168 ; 4-byte Folded Reload
	;; [unrolled: 1-line block ×4, first 2 shown]
	s_waitcnt vmcnt(0)
	v_mul_f64 v[34:35], v[40:41], v[24:25]
	v_mul_f64 v[36:37], v[40:41], v[22:23]
	global_store_dwordx4 v[8:9], v[0:3], off
	v_add_co_u32_e32 v8, vcc, s3, v8
	v_mul_f64 v[0:1], v[4:5], s[0:1]
	v_mul_f64 v[2:3], v[6:7], s[0:1]
	ds_read_b128 v[4:7], v87 offset:16896
	v_fma_f64 v[34:35], v[38:39], v[22:23], v[34:35]
	v_fma_f64 v[36:37], v[38:39], v[24:25], -v[36:37]
	ds_read_b128 v[22:25], v87 offset:17952
	buffer_load_dword v44, off, s[48:51], 0 offset:132 ; 4-byte Folded Reload
	buffer_load_dword v45, off, s[48:51], 0 offset:136 ; 4-byte Folded Reload
	;; [unrolled: 1-line block ×4, first 2 shown]
	v_addc_co_u32_e32 v9, vcc, v9, v43, vcc
	global_store_dwordx4 v[8:9], v[0:3], off
	v_add_co_u32_e32 v8, vcc, s3, v8
	v_mul_f64 v[0:1], v[34:35], s[0:1]
	v_mul_f64 v[2:3], v[36:37], s[0:1]
	v_addc_co_u32_e32 v9, vcc, v9, v43, vcc
	s_waitcnt vmcnt(1) lgkmcnt(1)
	v_mul_f64 v[38:39], v[46:47], v[6:7]
	v_mul_f64 v[40:41], v[46:47], v[4:5]
	v_fma_f64 v[4:5], v[44:45], v[4:5], v[38:39]
	v_fma_f64 v[6:7], v[44:45], v[6:7], -v[40:41]
	buffer_load_dword v44, off, s[48:51], 0 offset:116 ; 4-byte Folded Reload
	buffer_load_dword v45, off, s[48:51], 0 offset:120 ; 4-byte Folded Reload
	;; [unrolled: 1-line block ×4, first 2 shown]
	v_mov_b32_e32 v38, s2
	global_store_dwordx4 v[8:9], v[0:3], off
	v_add_co_u32_e32 v8, vcc, s3, v8
	v_addc_co_u32_e32 v9, vcc, v9, v38, vcc
	v_mul_f64 v[0:1], v[4:5], s[0:1]
	v_mul_f64 v[2:3], v[6:7], s[0:1]
	s_waitcnt vmcnt(1)
	v_mul_f64 v[34:35], v[46:47], v[16:17]
	v_mul_f64 v[36:37], v[46:47], v[14:15]
	v_fma_f64 v[4:5], v[44:45], v[14:15], v[34:35]
	v_fma_f64 v[6:7], v[44:45], v[16:17], -v[36:37]
	buffer_load_dword v34, off, s[48:51], 0 offset:148 ; 4-byte Folded Reload
	buffer_load_dword v35, off, s[48:51], 0 offset:152 ; 4-byte Folded Reload
	;; [unrolled: 1-line block ×4, first 2 shown]
	v_mul_f64 v[4:5], v[4:5], s[0:1]
	v_mul_f64 v[6:7], v[6:7], s[0:1]
	s_waitcnt vmcnt(0)
	v_mul_f64 v[14:15], v[36:37], v[32:33]
	v_mul_f64 v[16:17], v[36:37], v[30:31]
	buffer_load_dword v36, off, s[48:51], 0 offset:212 ; 4-byte Folded Reload
	buffer_load_dword v37, off, s[48:51], 0 offset:216 ; 4-byte Folded Reload
	;; [unrolled: 1-line block ×4, first 2 shown]
	v_fma_f64 v[14:15], v[34:35], v[30:31], v[14:15]
	v_fma_f64 v[16:17], v[34:35], v[32:33], -v[16:17]
	v_mad_u64_u32 v[30:31], s[4:5], s4, v42, v[8:9]
	global_store_dwordx4 v[8:9], v[0:3], off
	v_add_u32_e32 v31, s6, v31
	global_store_dwordx4 v[30:31], v[4:7], off
	v_mul_f64 v[0:1], v[14:15], s[0:1]
	v_mul_f64 v[2:3], v[16:17], s[0:1]
	v_mov_b32_e32 v14, s2
	s_waitcnt vmcnt(2)
	v_mul_f64 v[32:33], v[38:39], v[12:13]
	v_mul_f64 v[34:35], v[38:39], v[10:11]
	v_fma_f64 v[4:5], v[36:37], v[10:11], v[32:33]
	v_fma_f64 v[6:7], v[36:37], v[12:13], -v[34:35]
	buffer_load_dword v32, off, s[48:51], 0 offset:260 ; 4-byte Folded Reload
	buffer_load_dword v33, off, s[48:51], 0 offset:264 ; 4-byte Folded Reload
	;; [unrolled: 1-line block ×4, first 2 shown]
	v_add_co_u32_e32 v12, vcc, s3, v30
	v_addc_co_u32_e32 v13, vcc, v31, v14, vcc
	global_store_dwordx4 v[12:13], v[0:3], off
	s_waitcnt vmcnt(1)
	v_mul_f64 v[8:9], v[34:35], v[20:21]
	v_mul_f64 v[10:11], v[34:35], v[18:19]
	;; [unrolled: 1-line block ×4, first 2 shown]
	v_fma_f64 v[4:5], v[32:33], v[18:19], v[8:9]
	v_fma_f64 v[6:7], v[32:33], v[20:21], -v[10:11]
	buffer_load_dword v30, off, s[48:51], 0 offset:276 ; 4-byte Folded Reload
	buffer_load_dword v31, off, s[48:51], 0 offset:280 ; 4-byte Folded Reload
	;; [unrolled: 1-line block ×4, first 2 shown]
	v_add_co_u32_e32 v8, vcc, s3, v12
	v_addc_co_u32_e32 v9, vcc, v13, v14, vcc
	v_mov_b32_e32 v18, s2
	s_waitcnt vmcnt(0)
	v_mul_f64 v[10:11], v[32:33], v[28:29]
	v_mul_f64 v[12:13], v[32:33], v[26:27]
	buffer_load_dword v32, off, s[48:51], 0 offset:308 ; 4-byte Folded Reload
	buffer_load_dword v33, off, s[48:51], 0 offset:312 ; 4-byte Folded Reload
	;; [unrolled: 1-line block ×4, first 2 shown]
	s_waitcnt vmcnt(0) lgkmcnt(0)
	v_mul_f64 v[14:15], v[34:35], v[24:25]
	v_mul_f64 v[16:17], v[34:35], v[22:23]
	global_store_dwordx4 v[8:9], v[0:3], off
	v_add_co_u32_e32 v8, vcc, s3, v8
	v_mul_f64 v[0:1], v[4:5], s[0:1]
	v_mul_f64 v[2:3], v[6:7], s[0:1]
	v_fma_f64 v[4:5], v[30:31], v[26:27], v[10:11]
	v_fma_f64 v[6:7], v[30:31], v[28:29], -v[12:13]
	v_fma_f64 v[10:11], v[32:33], v[22:23], v[14:15]
	v_fma_f64 v[12:13], v[32:33], v[24:25], -v[16:17]
	v_addc_co_u32_e32 v9, vcc, v9, v18, vcc
	v_mov_b32_e32 v14, s2
	global_store_dwordx4 v[8:9], v[0:3], off
	v_add_co_u32_e32 v8, vcc, s3, v8
	v_mul_f64 v[0:1], v[4:5], s[0:1]
	v_mul_f64 v[2:3], v[6:7], s[0:1]
	v_mul_f64 v[4:5], v[10:11], s[0:1]
	v_mul_f64 v[6:7], v[12:13], s[0:1]
	v_addc_co_u32_e32 v9, vcc, v9, v14, vcc
	global_store_dwordx4 v[8:9], v[0:3], off
	s_nop 0
	v_mov_b32_e32 v1, s2
	v_add_co_u32_e32 v0, vcc, s3, v8
	v_addc_co_u32_e32 v1, vcc, v9, v1, vcc
	global_store_dwordx4 v[0:1], v[4:7], off
.LBB0_10:
	s_endpgm
	.section	.rodata,"a",@progbits
	.p2align	6, 0x0
	.amdhsa_kernel bluestein_single_fwd_len1188_dim1_dp_op_CI_CI
		.amdhsa_group_segment_fixed_size 57024
		.amdhsa_private_segment_fixed_size 688
		.amdhsa_kernarg_size 104
		.amdhsa_user_sgpr_count 6
		.amdhsa_user_sgpr_private_segment_buffer 1
		.amdhsa_user_sgpr_dispatch_ptr 0
		.amdhsa_user_sgpr_queue_ptr 0
		.amdhsa_user_sgpr_kernarg_segment_ptr 1
		.amdhsa_user_sgpr_dispatch_id 0
		.amdhsa_user_sgpr_flat_scratch_init 0
		.amdhsa_user_sgpr_private_segment_size 0
		.amdhsa_uses_dynamic_stack 0
		.amdhsa_system_sgpr_private_segment_wavefront_offset 1
		.amdhsa_system_sgpr_workgroup_id_x 1
		.amdhsa_system_sgpr_workgroup_id_y 0
		.amdhsa_system_sgpr_workgroup_id_z 0
		.amdhsa_system_sgpr_workgroup_info 0
		.amdhsa_system_vgpr_workitem_id 0
		.amdhsa_next_free_vgpr 256
		.amdhsa_next_free_sgpr 52
		.amdhsa_reserve_vcc 1
		.amdhsa_reserve_flat_scratch 0
		.amdhsa_float_round_mode_32 0
		.amdhsa_float_round_mode_16_64 0
		.amdhsa_float_denorm_mode_32 3
		.amdhsa_float_denorm_mode_16_64 3
		.amdhsa_dx10_clamp 1
		.amdhsa_ieee_mode 1
		.amdhsa_fp16_overflow 0
		.amdhsa_exception_fp_ieee_invalid_op 0
		.amdhsa_exception_fp_denorm_src 0
		.amdhsa_exception_fp_ieee_div_zero 0
		.amdhsa_exception_fp_ieee_overflow 0
		.amdhsa_exception_fp_ieee_underflow 0
		.amdhsa_exception_fp_ieee_inexact 0
		.amdhsa_exception_int_div_zero 0
	.end_amdhsa_kernel
	.text
.Lfunc_end0:
	.size	bluestein_single_fwd_len1188_dim1_dp_op_CI_CI, .Lfunc_end0-bluestein_single_fwd_len1188_dim1_dp_op_CI_CI
                                        ; -- End function
	.section	.AMDGPU.csdata,"",@progbits
; Kernel info:
; codeLenInByte = 31568
; NumSgprs: 56
; NumVgprs: 256
; ScratchSize: 688
; MemoryBound: 0
; FloatMode: 240
; IeeeMode: 1
; LDSByteSize: 57024 bytes/workgroup (compile time only)
; SGPRBlocks: 6
; VGPRBlocks: 63
; NumSGPRsForWavesPerEU: 56
; NumVGPRsForWavesPerEU: 256
; Occupancy: 1
; WaveLimiterHint : 1
; COMPUTE_PGM_RSRC2:SCRATCH_EN: 1
; COMPUTE_PGM_RSRC2:USER_SGPR: 6
; COMPUTE_PGM_RSRC2:TRAP_HANDLER: 0
; COMPUTE_PGM_RSRC2:TGID_X_EN: 1
; COMPUTE_PGM_RSRC2:TGID_Y_EN: 0
; COMPUTE_PGM_RSRC2:TGID_Z_EN: 0
; COMPUTE_PGM_RSRC2:TIDIG_COMP_CNT: 0
	.type	__hip_cuid_9ad3e60afd162496,@object ; @__hip_cuid_9ad3e60afd162496
	.section	.bss,"aw",@nobits
	.globl	__hip_cuid_9ad3e60afd162496
__hip_cuid_9ad3e60afd162496:
	.byte	0                               ; 0x0
	.size	__hip_cuid_9ad3e60afd162496, 1

	.ident	"AMD clang version 19.0.0git (https://github.com/RadeonOpenCompute/llvm-project roc-6.4.0 25133 c7fe45cf4b819c5991fe208aaa96edf142730f1d)"
	.section	".note.GNU-stack","",@progbits
	.addrsig
	.addrsig_sym __hip_cuid_9ad3e60afd162496
	.amdgpu_metadata
---
amdhsa.kernels:
  - .args:
      - .actual_access:  read_only
        .address_space:  global
        .offset:         0
        .size:           8
        .value_kind:     global_buffer
      - .actual_access:  read_only
        .address_space:  global
        .offset:         8
        .size:           8
        .value_kind:     global_buffer
      - .actual_access:  read_only
        .address_space:  global
        .offset:         16
        .size:           8
        .value_kind:     global_buffer
      - .actual_access:  read_only
        .address_space:  global
        .offset:         24
        .size:           8
        .value_kind:     global_buffer
      - .actual_access:  read_only
        .address_space:  global
        .offset:         32
        .size:           8
        .value_kind:     global_buffer
      - .offset:         40
        .size:           8
        .value_kind:     by_value
      - .address_space:  global
        .offset:         48
        .size:           8
        .value_kind:     global_buffer
      - .address_space:  global
        .offset:         56
        .size:           8
        .value_kind:     global_buffer
      - .address_space:  global
        .offset:         64
        .size:           8
        .value_kind:     global_buffer
      - .address_space:  global
        .offset:         72
        .size:           8
        .value_kind:     global_buffer
      - .offset:         80
        .size:           4
        .value_kind:     by_value
      - .address_space:  global
        .offset:         88
        .size:           8
        .value_kind:     global_buffer
      - .address_space:  global
        .offset:         96
        .size:           8
        .value_kind:     global_buffer
    .group_segment_fixed_size: 57024
    .kernarg_segment_align: 8
    .kernarg_segment_size: 104
    .language:       OpenCL C
    .language_version:
      - 2
      - 0
    .max_flat_workgroup_size: 198
    .name:           bluestein_single_fwd_len1188_dim1_dp_op_CI_CI
    .private_segment_fixed_size: 688
    .sgpr_count:     56
    .sgpr_spill_count: 0
    .symbol:         bluestein_single_fwd_len1188_dim1_dp_op_CI_CI.kd
    .uniform_work_group_size: 1
    .uses_dynamic_stack: false
    .vgpr_count:     256
    .vgpr_spill_count: 190
    .wavefront_size: 64
amdhsa.target:   amdgcn-amd-amdhsa--gfx906
amdhsa.version:
  - 1
  - 2
...

	.end_amdgpu_metadata
